;; amdgpu-corpus repo=UoB-HPC/miniBUDE kind=compiled arch=gfx1201 opt=O3
	.amdgcn_target "amdgcn-amd-amdhsa--gfx1201"
	.amdhsa_code_object_version 6
	.section	.text._ZL11fasten_mainILm1EEviiPK4AtomS2_PKfS4_S4_S4_S4_S4_PfPK8FFParamsi,"axG",@progbits,_ZL11fasten_mainILm1EEviiPK4AtomS2_PKfS4_S4_S4_S4_S4_PfPK8FFParamsi,comdat
	.globl	_ZL11fasten_mainILm1EEviiPK4AtomS2_PKfS4_S4_S4_S4_S4_PfPK8FFParamsi ; -- Begin function _ZL11fasten_mainILm1EEviiPK4AtomS2_PKfS4_S4_S4_S4_S4_PfPK8FFParamsi
	.p2align	8
	.type	_ZL11fasten_mainILm1EEviiPK4AtomS2_PKfS4_S4_S4_S4_S4_PfPK8FFParamsi,@function
_ZL11fasten_mainILm1EEviiPK4AtomS2_PKfS4_S4_S4_S4_S4_PfPK8FFParamsi: ; @_ZL11fasten_mainILm1EEviiPK4AtomS2_PKfS4_S4_S4_S4_S4_PfPK8FFParamsi
; %bb.0:
	s_clause 0x3
	s_load_b32 s2, s[0:1], 0x6c
	s_load_b32 s3, s[0:1], 0x58
	s_load_b512 s[8:23], s[0:1], 0x8
	s_load_b64 s[24:25], s[0:1], 0x0
	s_mov_b32 s26, 0x37d75334
	s_wait_kmcnt 0x0
	s_and_b32 s2, s2, 0xffff
	s_add_co_i32 s4, s3, -1
	v_mad_co_u64_u32 v[4:5], null, ttmp9, s2, v[0:1]
	s_max_i32 s25, s25, 1
	v_cmp_gt_i32_e64 s2, s3, v4
	s_mov_b32 s3, 0x7fffff
	s_wait_alu 0xf1ff
	v_cndmask_b32_e64 v0, s4, v4, s2
	s_delay_alu instid0(VALU_DEP_1) | instskip(NEXT) | instid1(VALU_DEP_1)
	v_ashrrev_i32_e32 v1, 31, v0
	v_lshlrev_b64_e32 v[0:1], 2, v[0:1]
	s_delay_alu instid0(VALU_DEP_1) | instskip(NEXT) | instid1(VALU_DEP_1)
	v_add_co_u32 v2, vcc_lo, s12, v0
	v_add_co_ci_u32_e64 v3, null, s13, v1, vcc_lo
	v_add_co_u32 v5, vcc_lo, s14, v0
	s_wait_alu 0xfffd
	v_add_co_ci_u32_e64 v6, null, s15, v1, vcc_lo
	global_load_b32 v2, v[2:3], off
	v_add_co_u32 v7, vcc_lo, s16, v0
	s_wait_alu 0xfffd
	v_add_co_ci_u32_e64 v8, null, s17, v1, vcc_lo
	global_load_b32 v3, v[5:6], off
	global_load_b32 v10, v[7:8], off
	v_add_co_u32 v7, vcc_lo, s18, v0
	s_wait_alu 0xfffd
	v_add_co_ci_u32_e64 v8, null, s19, v1, vcc_lo
	v_add_co_u32 v15, vcc_lo, s20, v0
	s_wait_alu 0xfffd
	v_add_co_ci_u32_e64 v16, null, s21, v1, vcc_lo
	;; [unrolled: 3-line block ×3, first 2 shown]
	global_load_b32 v7, v[7:8], off
	global_load_b32 v8, v[15:16], off
	s_load_b128 s[12:15], s[0:1], 0x48
	s_mov_b32 s16, 0xb94c1982
	global_load_b32 v9, v[0:1], off
	s_mov_b32 s17, 0
	s_max_i32 s18, s24, 1
	s_wait_loadcnt 0x5
	v_dual_mov_b32 v6, 0 :: v_dual_and_b32 v11, 0x7fffffff, v2
	v_mul_f32_e64 v0, 0x3f22f983, |v2|
	s_delay_alu instid0(VALU_DEP_2) | instskip(NEXT) | instid1(VALU_DEP_2)
	v_and_or_b32 v23, v11, s3, 0x800000
	v_rndne_f32_e32 v24, v0
	s_wait_loadcnt 0x4
	v_mul_f32_e64 v16, 0x3f22f983, |v3|
	s_wait_loadcnt 0x3
	v_mul_f32_e64 v17, 0x3f22f983, |v10|
	v_lshrrev_b32_e32 v18, 23, v11
	v_mad_co_u64_u32 v[12:13], null, 0xfe5163ab, v23, 0
	v_fma_f32 v32, 0xbfc90fda, v24, |v2|
	v_rndne_f32_e32 v26, v16
	v_rndne_f32_e32 v31, v17
	v_add_nc_u32_e32 v25, 0xffffff88, v18
	v_cvt_i32_f32_e32 v33, v24
	v_dual_mov_b32 v5, v13 :: v_dual_and_b32 v28, 0x7fffffff, v10
	v_fma_f32 v34, 0xbfc90fda, v26, |v3|
	s_delay_alu instid0(VALU_DEP_4) | instskip(SKIP_1) | instid1(VALU_DEP_4)
	v_cmp_lt_u32_e32 vcc_lo, 63, v25
	v_fma_f32 v37, 0xbfc90fda, v31, |v10|
	v_lshrrev_b32_e32 v19, 23, v28
	v_mad_co_u64_u32 v[13:14], null, 0x3c439041, v23, v[5:6]
	v_and_or_b32 v30, v28, s3, 0x800000
	v_cvt_i32_f32_e32 v38, v31
	v_cvt_i32_f32_e32 v35, v26
	v_add_nc_u32_e32 v36, 0xffffff88, v19
	v_fmac_f32_e32 v32, 0xb3a22168, v24
	v_mad_co_u64_u32 v[19:20], null, 0xfe5163ab, v30, 0
	v_mov_b32_e32 v5, v14
	s_delay_alu instid0(VALU_DEP_4) | instskip(SKIP_2) | instid1(VALU_DEP_4)
	v_cmp_lt_u32_e64 s1, 63, v36
	v_fmac_f32_e32 v34, 0xb3a22168, v26
	v_fmac_f32_e32 v32, 0xa7c234c4, v24
	v_mad_co_u64_u32 v[14:15], null, 0xdb629599, v23, v[5:6]
	s_wait_alu 0xf1ff
	v_cndmask_b32_e64 v40, 0, 0xffffffc0, s1
	v_fmac_f32_e32 v34, 0xa7c234c4, v26
	s_delay_alu instid0(VALU_DEP_2) | instskip(NEXT) | instid1(VALU_DEP_1)
	v_dual_mov_b32 v5, v15 :: v_dual_add_nc_u32 v36, v40, v36
	v_cmp_lt_u32_e64 s5, 31, v36
	s_delay_alu instid0(VALU_DEP_2) | instskip(NEXT) | instid1(VALU_DEP_1)
	v_mad_co_u64_u32 v[0:1], null, 0xf534ddc0, v23, v[5:6]
	v_mov_b32_e32 v5, v1
	s_wait_alu 0xfffd
	s_delay_alu instid0(VALU_DEP_2) | instskip(NEXT) | instid1(VALU_DEP_2)
	v_cndmask_b32_e32 v13, v0, v13, vcc_lo
	v_mad_co_u64_u32 v[17:18], null, 0xfc2757d1, v23, v[5:6]
	s_delay_alu instid0(VALU_DEP_1) | instskip(SKIP_1) | instid1(VALU_DEP_2)
	v_mov_b32_e32 v5, v18
	v_cndmask_b32_e64 v18, 0, 0xffffffc0, vcc_lo
	v_mad_co_u64_u32 v[21:22], null, 0x4e441529, v23, v[5:6]
	v_and_b32_e32 v27, 0x7fffffff, v3
	s_delay_alu instid0(VALU_DEP_1) | instskip(NEXT) | instid1(VALU_DEP_3)
	v_lshrrev_b32_e32 v15, 23, v27
	v_mov_b32_e32 v5, v22
	v_and_or_b32 v29, v27, s3, 0x800000
	s_delay_alu instid0(VALU_DEP_3) | instskip(NEXT) | instid1(VALU_DEP_3)
	v_add_nc_u32_e32 v1, 0xffffff88, v15
	v_mad_co_u64_u32 v[22:23], null, 0xa2f9836e, v23, v[5:6]
	s_delay_alu instid0(VALU_DEP_3) | instskip(NEXT) | instid1(VALU_DEP_2)
	v_mad_co_u64_u32 v[15:16], null, 0xfe5163ab, v29, 0
	v_dual_cndmask_b32 v22, v22, v17 :: v_dual_fmac_f32 v37, 0xb3a22168, v31
	s_delay_alu instid0(VALU_DEP_2) | instskip(NEXT) | instid1(VALU_DEP_2)
	v_dual_mov_b32 v5, v16 :: v_dual_add_nc_u32 v18, v18, v25
	v_fmac_f32_e32 v37, 0xa7c234c4, v31
	s_delay_alu instid0(VALU_DEP_2) | instskip(NEXT) | instid1(VALU_DEP_3)
	v_cmp_lt_u32_e64 s3, 31, v18
	v_mad_co_u64_u32 v[24:25], null, 0x3c439041, v29, v[5:6]
	s_wait_alu 0xf1ff
	v_cndmask_b32_e64 v5, 0, 0xffffffe0, s5
	s_delay_alu instid0(VALU_DEP_3) | instskip(NEXT) | instid1(VALU_DEP_2)
	v_cndmask_b32_e64 v16, 0, 0xffffffe0, s3
	v_add_nc_u32_e32 v31, v5, v36
	v_cndmask_b32_e32 v36, v21, v0, vcc_lo
	s_delay_alu instid0(VALU_DEP_3)
	v_add_nc_u32_e32 v16, v16, v18
	v_cndmask_b32_e32 v0, v17, v14, vcc_lo
	v_cmp_lt_u32_e64 s0, 63, v1
	v_cmp_lt_u32_e64 s7, 31, v31
	v_cndmask_b32_e64 v17, v22, v36, s3
	v_cmp_lt_u32_e64 s6, 31, v16
	s_wait_alu 0xf1ff
	v_cndmask_b32_e64 v39, 0, 0xffffffc0, s0
	s_delay_alu instid0(VALU_DEP_1) | instskip(NEXT) | instid1(VALU_DEP_1)
	v_add_nc_u32_e32 v1, v39, v1
	v_cmp_lt_u32_e64 s4, 31, v1
	s_wait_alu 0xf1ff
	s_delay_alu instid0(VALU_DEP_1) | instskip(NEXT) | instid1(VALU_DEP_1)
	v_cndmask_b32_e64 v39, 0, 0xffffffe0, s4
	v_dual_mov_b32 v5, v25 :: v_dual_add_nc_u32 v18, v39, v1
	v_cndmask_b32_e64 v1, 0, 0xffffffe0, s6
	s_delay_alu instid0(VALU_DEP_2) | instskip(NEXT) | instid1(VALU_DEP_2)
	v_mad_co_u64_u32 v[25:26], null, 0xdb629599, v29, v[5:6]
	v_dual_cndmask_b32 v5, v23, v21 :: v_dual_add_nc_u32 v16, v1, v16
	v_cndmask_b32_e64 v23, v0, v13, s3
	s_delay_alu instid0(VALU_DEP_2) | instskip(NEXT) | instid1(VALU_DEP_4)
	v_cndmask_b32_e64 v1, v5, v22, s3
	v_mov_b32_e32 v5, v26
	v_cndmask_b32_e64 v22, v36, v0, s3
	v_sub_nc_u32_e32 v21, 32, v16
	v_cndmask_b32_e64 v40, v25, v15, s0
	v_cndmask_b32_e64 v26, v1, v17, s6
	v_mad_co_u64_u32 v[0:1], null, 0xf534ddc0, v29, v[5:6]
	v_cndmask_b32_e64 v17, v17, v22, s6
	v_cndmask_b32_e32 v5, v14, v12, vcc_lo
	v_cndmask_b32_e64 v22, v22, v23, s6
	v_cmp_lt_u32_e32 vcc_lo, 31, v18
	s_delay_alu instid0(VALU_DEP_4) | instskip(NEXT) | instid1(VALU_DEP_4)
	v_alignbit_b32 v12, v26, v17, v21
	v_cndmask_b32_e64 v36, v13, v5, s3
	v_mov_b32_e32 v5, v1
	v_cmp_eq_u32_e64 s3, 0, v16
	v_alignbit_b32 v1, v17, v22, v21
	s_wait_alu 0xfffd
	v_cndmask_b32_e64 v14, 0, 0xffffffe0, vcc_lo
	s_wait_alu 0xf1ff
	v_cndmask_b32_e64 v16, v12, v26, s3
	v_mad_co_u64_u32 v[12:13], null, 0xfc2757d1, v29, v[5:6]
	v_cndmask_b32_e64 v5, 0, 0xffffffe0, s7
	v_cndmask_b32_e64 v1, v1, v17, s3
	s_delay_alu instid0(VALU_DEP_4)
	v_bfe_u32 v39, v16, 29, 1
	v_cndmask_b32_e64 v17, v23, v36, s6
	v_add_nc_u32_e32 v26, v14, v18
	v_add_nc_u32_e32 v23, v5, v31
	v_mov_b32_e32 v5, v13
	v_alignbit_b32 v18, v16, v1, 30
	v_sub_nc_u32_e32 v31, 0, v39
	v_alignbit_b32 v21, v22, v17, v21
	v_lshrrev_b32_e32 v41, 29, v16
	v_mad_co_u64_u32 v[13:14], null, 0x4e441529, v29, v[5:6]
	s_delay_alu instid0(VALU_DEP_4) | instskip(NEXT) | instid1(VALU_DEP_4)
	v_xor_b32_e32 v18, v18, v31
	v_cndmask_b32_e64 v21, v21, v22, s3
	v_lshrrev_b32_e32 v42, 30, v16
	v_cndmask_b32_e64 v25, v12, v25, s0
	v_sub_nc_u32_e32 v36, 32, v26
	v_clz_i32_u32_e32 v15, v18
	v_mov_b32_e32 v5, v14
	v_alignbit_b32 v1, v1, v21, 30
	v_alignbit_b32 v21, v21, v17, 30
	v_cndmask_b32_e64 v44, v13, v0, s0
	v_min_u32_e32 v43, 32, v15
	v_mad_co_u64_u32 v[14:15], null, 0xa2f9836e, v29, v[5:6]
	v_mov_b32_e32 v5, v20
	v_xor_b32_e32 v1, v1, v31
	s_delay_alu instid0(VALU_DEP_4)
	v_sub_nc_u32_e32 v29, 31, v43
	v_lshlrev_b32_e32 v20, 31, v41
	v_sub_nc_u32_e32 v22, 32, v23
	v_mad_co_u64_u32 v[16:17], null, 0x3c439041, v30, v[5:6]
	v_xor_b32_e32 v5, v21, v31
	v_alignbit_b32 v31, v18, v1, v29
	v_cndmask_b32_e64 v21, v0, v24, s0
	v_or_b32_e32 v24, 0x33000000, v20
	v_or_b32_e32 v20, 0.5, v20
	v_alignbit_b32 v29, v1, v5, v29
	v_mov_b32_e32 v5, v17
	v_cndmask_b32_e64 v1, v21, v40, s4
	v_lshlrev_b32_e32 v40, 23, v43
	v_cndmask_b32_e64 v21, v25, v21, s4
	v_alignbit_b32 v41, v31, v29, 9
	v_mad_co_u64_u32 v[17:18], null, 0xdb629599, v30, v[5:6]
	s_delay_alu instid0(VALU_DEP_4) | instskip(SKIP_1) | instid1(VALU_DEP_4)
	v_sub_nc_u32_e32 v0, v20, v40
	v_lshrrev_b32_e32 v20, 9, v31
	v_clz_i32_u32_e32 v31, v41
	v_cndmask_b32_e32 v40, v21, v1, vcc_lo
	v_cndmask_b32_e64 v12, v14, v12, s0
	v_cndmask_b32_e64 v25, v44, v25, s4
	v_mov_b32_e32 v5, v18
	v_or_b32_e32 v18, v20, v0
	v_min_u32_e32 v20, 32, v31
	v_cndmask_b32_e64 v14, v12, v44, s4
	v_cndmask_b32_e64 v19, v17, v19, s1
	v_mad_co_u64_u32 v[0:1], null, 0xf534ddc0, v30, v[5:6]
	v_cndmask_b32_e64 v5, v15, v13, s0
	v_not_b32_e32 v13, v20
	v_cndmask_b32_e32 v15, v25, v21, vcc_lo
	v_mul_f32_e32 v21, 0x3fc90fda, v18
	v_add_lshl_u32 v20, v20, v43, 23
	v_cndmask_b32_e64 v12, v5, v12, s4
	v_mov_b32_e32 v5, v1
	v_alignbit_b32 v29, v41, v29, v13
	v_fma_f32 v1, 0x3fc90fda, v18, -v21
	v_cndmask_b32_e32 v25, v14, v25, vcc_lo
	v_cndmask_b32_e32 v31, v12, v14, vcc_lo
	v_mad_co_u64_u32 v[12:13], null, 0xfc2757d1, v30, v[5:6]
	v_sub_nc_u32_e32 v14, v24, v20
	v_fmac_f32_e32 v1, 0x33a22168, v18
	v_lshrrev_b32_e32 v18, 9, v29
	v_alignbit_b32 v41, v15, v40, v36
	v_alignbit_b32 v20, v31, v25, v36
	v_cmp_eq_u32_e32 vcc_lo, 0, v26
	v_mov_b32_e32 v5, v13
	v_or_b32_e32 v18, v14, v18
	v_alignbit_b32 v24, v25, v15, v36
	v_cndmask_b32_e64 v16, v0, v16, s1
	s_wait_alu 0xfffd
	v_cndmask_b32_e32 v20, v20, v31, vcc_lo
	v_mad_co_u64_u32 v[13:14], null, 0x4e441529, v30, v[5:6]
	v_dual_cndmask_b32 v24, v24, v25 :: v_dual_cndmask_b32 v15, v41, v15
	v_fmac_f32_e32 v1, 0x3fc90fda, v18
	s_delay_alu instid0(VALU_DEP_4) | instskip(SKIP_1) | instid1(VALU_DEP_4)
	v_bfe_u32 v29, v20, 29, 1
	v_lshrrev_b32_e32 v26, 29, v20
	v_alignbit_b32 v18, v20, v24, 30
	v_mov_b32_e32 v5, v14
	v_alignbit_b32 v24, v24, v15, 30
	v_alignbit_b32 v31, v15, v40, 30
	v_cndmask_b32_e64 v0, v13, v0, s1
	v_add_nc_u32_e32 v25, v39, v42
	v_mad_co_u64_u32 v[14:15], null, 0xa2f9836e, v30, v[5:6]
	v_lshrrev_b32_e32 v5, 30, v20
	v_sub_nc_u32_e32 v20, 0, v29
	v_add_f32_e32 v1, v21, v1
	v_cmp_gt_f32_e64 vcc_lo, 0x48000000, |v2|
	v_lshlrev_b32_e32 v21, 31, v26
	v_cmp_class_f32_e64 s0, v2, 0x1f8
	v_cndmask_b32_e64 v14, v14, v12, s1
	v_cndmask_b32_e64 v13, v15, v13, s1
	;; [unrolled: 1-line block ×3, first 2 shown]
	v_xor_b32_e32 v15, v18, v20
	v_xor_b32_e32 v17, v24, v20
	v_cndmask_b32_e64 v18, v14, v0, s5
	v_cndmask_b32_e64 v13, v13, v14, s5
	;; [unrolled: 1-line block ×4, first 2 shown]
	s_wait_alu 0xfffd
	v_cndmask_b32_e32 v1, v1, v32, vcc_lo
	v_cndmask_b32_e32 v24, v25, v33, vcc_lo
	v_cndmask_b32_e64 v13, v13, v18, s7
	v_cndmask_b32_e64 v18, v18, v0, s7
	;; [unrolled: 1-line block ×3, first 2 shown]
	v_cmp_eq_u32_e32 vcc_lo, 0, v23
	v_cndmask_b32_e64 v16, v16, v19, s5
	v_xor_b32_e32 v14, v31, v20
	v_alignbit_b32 v25, v13, v18, v22
	v_alignbit_b32 v26, v18, v0, v22
	v_clz_i32_u32_e32 v19, v15
	v_cndmask_b32_e64 v12, v12, v16, s7
	v_mul_f32_e32 v23, v1, v1
	s_wait_alu 0xfffd
	v_dual_cndmask_b32 v13, v25, v13 :: v_dual_cndmask_b32 v18, v26, v18
	v_min_u32_e32 v19, 32, v19
	v_alignbit_b32 v22, v0, v12, v22
	v_or_b32_e32 v20, 0x33000000, v21
	s_delay_alu instid0(VALU_DEP_4)
	v_bfe_u32 v26, v13, 29, 1
	v_alignbit_b32 v16, v13, v18, 30
	v_or_b32_e32 v21, 0.5, v21
	s_wait_alu 0xfffe
	v_fmaak_f32 v30, s16, v23, 0x3c0881c4
	v_fmaak_f32 v32, s26, v23, 0xbab64f3b
	v_sub_nc_u32_e32 v31, 0, v26
	v_sub_nc_u32_e32 v33, 31, v19
	v_lshlrev_b32_e32 v36, 23, v19
	v_cndmask_b32_e32 v0, v22, v0, vcc_lo
	v_fmaak_f32 v30, v23, v30, 0xbe2aaa9d
	v_xor_b32_e32 v16, v16, v31
	v_fmaak_f32 v32, v23, v32, 0x3d2aabf7
	v_alignbit_b32 v15, v15, v17, v33
	v_alignbit_b32 v14, v17, v14, v33
	v_sub_nc_u32_e32 v17, v21, v36
	v_clz_i32_u32_e32 v22, v16
	v_alignbit_b32 v18, v18, v0, 30
	v_alignbit_b32 v0, v0, v12, 30
	v_dual_mul_f32 v12, v23, v30 :: v_dual_and_b32 v25, 1, v24
	s_delay_alu instid0(VALU_DEP_4)
	v_min_u32_e32 v21, 32, v22
	v_fmaak_f32 v22, v23, v32, 0xbf000004
	v_xor_b32_e32 v18, v18, v31
	v_xor_b32_e32 v0, v0, v31
	v_lshrrev_b32_e32 v31, 29, v13
	v_sub_nc_u32_e32 v30, 31, v21
	v_alignbit_b32 v32, v15, v14, 9
	v_fmac_f32_e32 v1, v1, v12
	v_lshrrev_b32_e32 v15, 9, v15
	v_fma_f32 v22, v23, v22, 1.0
	v_alignbit_b32 v16, v16, v18, v30
	v_alignbit_b32 v0, v18, v0, v30
	v_lshlrev_b32_e32 v18, 31, v31
	v_clz_i32_u32_e32 v12, v32
	v_lshlrev_b32_e32 v31, 23, v21
	v_or_b32_e32 v15, v15, v17
	v_alignbit_b32 v17, v16, v0, 9
	v_or_b32_e32 v30, 0.5, v18
	v_min_u32_e32 v12, 32, v12
	v_lshrrev_b32_e32 v16, 9, v16
	v_mul_f32_e32 v33, 0x3fc90fda, v15
	v_clz_i32_u32_e32 v23, v17
	v_sub_nc_u32_e32 v30, v30, v31
	v_not_b32_e32 v31, v12
	v_add_lshl_u32 v12, v12, v19, 23
	v_fma_f32 v19, 0x3fc90fda, v15, -v33
	v_min_u32_e32 v23, 32, v23
	v_cmp_eq_u32_e32 vcc_lo, 0, v25
	v_alignbit_b32 v14, v32, v14, v31
	v_sub_nc_u32_e32 v12, v20, v12
	v_lshlrev_b32_e32 v24, 30, v24
	v_or_b32_e32 v16, v16, v30
	v_not_b32_e32 v30, v23
	v_lshrrev_b32_e32 v14, 9, v14
	v_fmac_f32_e32 v19, 0x33a22168, v15
	v_and_b32_e32 v24, 0x80000000, v24
	v_or_b32_e32 v18, 0x33000000, v18
	v_mul_f32_e32 v20, 0x3fc90fda, v16
	v_or_b32_e32 v12, v12, v14
	s_wait_alu 0xfffd
	v_cndmask_b32_e32 v14, v22, v1, vcc_lo
	v_add_lshl_u32 v21, v23, v21, 23
	v_alignbit_b32 v0, v17, v0, v30
	v_fma_f32 v15, 0x3fc90fda, v16, -v20
	v_fmac_f32_e32 v19, 0x3fc90fda, v12
	v_xor_b32_e32 v12, v2, v14
	v_sub_nc_u32_e32 v17, v18, v21
	v_lshrrev_b32_e32 v0, 9, v0
	v_cndmask_b32_e64 v1, -v1, v22, vcc_lo
	v_cmp_gt_f32_e64 vcc_lo, 0x48000000, |v3|
	v_xor3_b32 v11, v12, v11, v24
	s_add_nc_u64 s[4:5], s[8:9], 8
	v_or_b32_e32 v0, v17, v0
	v_xor_b32_e32 v1, v24, v1
	s_wait_alu 0xf1ff
	v_cndmask_b32_e64 v2, 0x7fc00000, v11, s0
	v_fmac_f32_e32 v15, 0x33a22168, v16
	s_delay_alu instid0(VALU_DEP_3) | instskip(NEXT) | instid1(VALU_DEP_2)
	v_cndmask_b32_e64 v1, 0x7fc00000, v1, s0
	v_dual_fmac_f32 v15, 0x3fc90fda, v0 :: v_dual_add_f32 v0, v33, v19
	s_delay_alu instid0(VALU_DEP_1) | instskip(SKIP_1) | instid1(VALU_DEP_2)
	v_add_f32_e32 v12, v20, v15
	s_wait_alu 0xfffd
	v_cndmask_b32_e32 v0, v0, v34, vcc_lo
	s_delay_alu instid0(VALU_DEP_1) | instskip(SKIP_1) | instid1(VALU_DEP_1)
	v_mul_f32_e32 v14, v0, v0
	v_lshrrev_b32_e32 v13, 30, v13
	v_dual_fmaak_f32 v16, s16, v14, 0x3c0881c4 :: v_dual_add_nc_u32 v11, v26, v13
	v_fmaak_f32 v17, s26, v14, 0xbab64f3b
	s_delay_alu instid0(VALU_DEP_2) | instskip(NEXT) | instid1(VALU_DEP_2)
	v_fmaak_f32 v16, v14, v16, 0xbe2aaa9d
	v_fmaak_f32 v17, v14, v17, 0x3d2aabf7
	s_delay_alu instid0(VALU_DEP_2) | instskip(NEXT) | instid1(VALU_DEP_1)
	v_dual_mul_f32 v16, v14, v16 :: v_dual_add_nc_u32 v5, v29, v5
	v_dual_fmaak_f32 v17, v14, v17, 0xbf000004 :: v_dual_fmac_f32 v0, v0, v16
	s_delay_alu instid0(VALU_DEP_2) | instskip(SKIP_1) | instid1(VALU_DEP_3)
	v_cndmask_b32_e32 v5, v5, v35, vcc_lo
	v_cmp_gt_f32_e64 vcc_lo, 0x48000000, |v10|
	v_fma_f32 v14, v14, v17, 1.0
	s_delay_alu instid0(VALU_DEP_3) | instskip(SKIP_2) | instid1(VALU_DEP_1)
	v_and_b32_e32 v15, 1, v5
	s_wait_alu 0xfffd
	v_cndmask_b32_e32 v12, v12, v37, vcc_lo
	v_mul_f32_e32 v13, v12, v12
	s_delay_alu instid0(VALU_DEP_1) | instskip(SKIP_2) | instid1(VALU_DEP_2)
	v_fmaak_f32 v18, s16, v13, 0x3c0881c4
	v_fmaak_f32 v19, s26, v13, 0xbab64f3b
	s_mov_b32 s16, s17
	v_fmaak_f32 v18, v13, v18, 0xbe2aaa9d
	s_delay_alu instid0(VALU_DEP_2) | instskip(SKIP_2) | instid1(VALU_DEP_4)
	v_fmaak_f32 v19, v13, v19, 0x3d2aabf7
	v_cndmask_b32_e32 v11, v11, v38, vcc_lo
	v_cmp_eq_u32_e32 vcc_lo, 0, v15
	v_mul_f32_e32 v18, v13, v18
	s_delay_alu instid0(VALU_DEP_4) | instskip(NEXT) | instid1(VALU_DEP_4)
	v_fmaak_f32 v19, v13, v19, 0xbf000004
	v_and_b32_e32 v16, 1, v11
	v_lshlrev_b32_e32 v11, 30, v11
	s_wait_alu 0xfffd
	v_dual_cndmask_b32 v15, v14, v0 :: v_dual_fmac_f32 v12, v12, v18
	v_fma_f32 v13, v13, v19, 1.0
	v_cmp_eq_u32_e64 s1, 0, v16
	v_and_b32_e32 v11, 0x80000000, v11
	v_cndmask_b32_e64 v0, -v0, v14, vcc_lo
	v_xor_b32_e32 v14, v3, v15
	v_cmp_class_f32_e64 vcc_lo, v3, 0x1f8
	s_wait_alu 0xf1ff
	v_cndmask_b32_e64 v16, v13, v12, s1
	v_cndmask_b32_e64 v12, -v12, v13, s1
	v_cmp_class_f32_e64 s1, v10, 0x1f8
	s_delay_alu instid0(VALU_DEP_3) | instskip(NEXT) | instid1(VALU_DEP_3)
	v_xor_b32_e32 v13, v10, v16
	v_xor_b32_e32 v3, v11, v12
	s_delay_alu instid0(VALU_DEP_2) | instskip(SKIP_1) | instid1(VALU_DEP_2)
	v_xor3_b32 v11, v13, v28, v11
	s_wait_alu 0xf1ff
	v_cndmask_b32_e64 v3, 0x7fc00000, v3, s1
	s_delay_alu instid0(VALU_DEP_2) | instskip(SKIP_1) | instid1(VALU_DEP_3)
	v_cndmask_b32_e64 v12, 0x7fc00000, v11, s1
	v_lshlrev_b32_e32 v5, 30, v5
	v_mul_f32_e32 v15, v1, v3
	s_delay_alu instid0(VALU_DEP_3) | instskip(NEXT) | instid1(VALU_DEP_3)
	v_mul_f32_e32 v17, v1, v12
	v_and_b32_e32 v5, 0x80000000, v5
	s_delay_alu instid0(VALU_DEP_1) | instskip(SKIP_2) | instid1(VALU_DEP_2)
	v_xor_b32_e32 v0, v5, v0
	v_xor3_b32 v5, v14, v27, v5
	s_wait_alu 0xfffd
	v_cndmask_b32_e32 v0, 0x7fc00000, v0, vcc_lo
	s_delay_alu instid0(VALU_DEP_2) | instskip(NEXT) | instid1(VALU_DEP_2)
	v_cndmask_b32_e32 v5, 0x7fc00000, v5, vcc_lo
	v_mul_f32_e32 v11, v1, v0
	s_delay_alu instid0(VALU_DEP_2) | instskip(SKIP_3) | instid1(VALU_DEP_4)
	v_mul_f32_e32 v19, v1, v5
	v_mul_f32_e32 v18, v2, v5
	;; [unrolled: 1-line block ×3, first 2 shown]
	v_dual_mul_f32 v10, v2, v0 :: v_dual_mul_f32 v13, v0, v3
	v_mul_f32_e32 v14, v19, v3
	v_mul_f32_e32 v16, v0, v12
	v_fma_f32 v17, v18, v3, -v17
	v_fmac_f32_e32 v15, v18, v12
	v_fma_f32 v18, v19, v12, -v1
	v_fmac_f32_e32 v14, v2, v12
	v_mov_b32_e32 v12, 0
.LBB0_1:                                ; =>This Loop Header: Depth=1
                                        ;     Child Loop BB0_2 Depth 2
	s_wait_alu 0xfffe
	s_lshl_b64 s[0:1], s[16:17], 4
	s_mov_b32 s21, s25
	s_wait_alu 0xfffe
	s_add_nc_u64 s[0:1], s[10:11], s[0:1]
	s_mov_b64 s[6:7], s[4:5]
	global_load_b128 v[19:22], v6, s[0:1]
	s_wait_loadcnt 0x0
	v_ashrrev_i32_e32 v1, 31, v22
	v_mov_b32_e32 v0, v22
	s_delay_alu instid0(VALU_DEP_1) | instskip(SKIP_1) | instid1(VALU_DEP_1)
	v_lshlrev_b64_e32 v[0:1], 4, v[0:1]
	s_wait_kmcnt 0x0
	v_add_co_u32 v0, vcc_lo, s14, v0
	s_wait_alu 0xfffd
	s_delay_alu instid0(VALU_DEP_2)
	v_add_co_ci_u32_e64 v1, null, s15, v1, vcc_lo
	global_load_b128 v[0:3], v[0:1], off
	s_wait_loadcnt 0x0
	v_readfirstlane_b32 s8, v2
	v_readfirstlane_b32 s0, v0
	v_fma_f32 v2, v13, v19, v7
	v_fma_f32 v0, v16, v19, v8
	v_fma_f32 v19, -v5, v19, v9
	s_cmp_gt_f32 s8, 0
	s_delay_alu instid0(VALU_DEP_3) | instskip(NEXT) | instid1(VALU_DEP_3)
	v_fmac_f32_e32 v2, v17, v20
	v_fmac_f32_e32 v0, v15, v20
	s_cselect_b32 s9, -1, 0
	s_wait_alu 0xfffe
	s_cmp_eq_u32 s0, 0x46
	v_fmac_f32_e32 v19, v10, v20
	s_cselect_b32 s19, -1, 0
	s_cmp_eq_u32 s0, 0x45
	v_fmac_f32_e32 v2, v14, v21
	s_cselect_b32 s20, -1, 0
	s_cmp_lt_f32 s8, 0
	v_fmac_f32_e32 v0, v18, v21
	v_fmac_f32_e32 v19, v11, v21
	s_cselect_b32 s22, -1, 0
	s_wait_alu 0xfffe
	s_and_b32 s0, s22, exec_lo
	s_cselect_b32 s23, 0x40b00000, 1.0
	s_cselect_b32 s24, 1.0, 0xff7fffff
	s_xor_b32 s26, s8, 0x80000000
.LBB0_2:                                ;   Parent Loop BB0_1 Depth=1
                                        ; =>  This Inner Loop Header: Depth=2
	global_load_b128 v[20:23], v6, s[6:7] offset:-8
	s_add_nc_u64 s[6:7], s[6:7], 16
	s_wait_loadcnt 0x0
	v_ashrrev_i32_e32 v24, 31, v23
	v_dual_sub_f32 v21, v0, v21 :: v_dual_sub_f32 v20, v2, v20
	v_sub_f32_e32 v22, v19, v22
	s_delay_alu instid0(VALU_DEP_3) | instskip(NEXT) | instid1(VALU_DEP_3)
	v_lshlrev_b64_e32 v[23:24], 4, v[23:24]
	v_mul_f32_e32 v21, v21, v21
	s_delay_alu instid0(VALU_DEP_2) | instskip(SKIP_1) | instid1(VALU_DEP_3)
	v_add_co_u32 v23, vcc_lo, s14, v23
	s_wait_alu 0xfffd
	v_add_co_ci_u32_e64 v24, null, s15, v24, vcc_lo
	global_load_b128 v[23:26], v[23:24], off
	v_fmac_f32_e32 v21, v20, v20
	s_delay_alu instid0(VALU_DEP_1) | instskip(NEXT) | instid1(VALU_DEP_1)
	v_fmac_f32_e32 v21, v22, v22
	v_cmp_gt_f32_e32 vcc_lo, 0xf800000, v21
	v_mul_f32_e32 v20, 0x4f800000, v21
	s_wait_alu 0xfffd
	s_delay_alu instid0(VALU_DEP_1) | instskip(NEXT) | instid1(VALU_DEP_1)
	v_cndmask_b32_e32 v20, v21, v20, vcc_lo
	v_sqrt_f32_e32 v21, v20
	s_delay_alu instid0(TRANS32_DEP_1) | instskip(SKIP_1) | instid1(VALU_DEP_2)
	v_add_nc_u32_e32 v22, -1, v21
	v_add_nc_u32_e32 v27, 1, v21
	v_fma_f32 v28, -v22, v21, v20
	s_delay_alu instid0(VALU_DEP_2) | instskip(NEXT) | instid1(VALU_DEP_2)
	v_fma_f32 v29, -v27, v21, v20
	v_cmp_ge_f32_e64 s0, 0, v28
	s_wait_alu 0xf1fe
	s_delay_alu instid0(VALU_DEP_1) | instskip(NEXT) | instid1(VALU_DEP_3)
	v_cndmask_b32_e64 v21, v21, v22, s0
	v_cmp_lt_f32_e64 s0, 0, v29
	s_wait_alu 0xf1ff
	s_delay_alu instid0(VALU_DEP_1) | instskip(NEXT) | instid1(VALU_DEP_1)
	v_cndmask_b32_e64 v21, v21, v27, s0
	v_mul_f32_e32 v22, 0x37800000, v21
	s_delay_alu instid0(VALU_DEP_1) | instskip(SKIP_2) | instid1(VALU_DEP_2)
	v_cndmask_b32_e32 v21, v21, v22, vcc_lo
	v_cmp_class_f32_e64 vcc_lo, v20, 0x260
	s_wait_alu 0xfffd
	v_cndmask_b32_e32 v20, v21, v20, vcc_lo
	s_wait_loadcnt 0x0
	v_readfirstlane_b32 s1, v23
	v_add_f32_e32 v21, v1, v24
	v_readfirstlane_b32 s27, v25
	v_mul_f32_e32 v22, v3, v26
	s_cmp_eq_u32 s1, 0x46
	v_div_scale_f32 v23, null, v21, v21, 1.0
	s_cselect_b32 s0, -1, 0
	v_sub_f32_e32 v25, v20, v21
	s_wait_alu 0xfffe
	s_and_b32 s3, s0, s19
	v_xor_b32_e32 v26, 0x80000000, v23
	s_wait_alu 0xfffe
	s_and_b32 s3, s3, exec_lo
	s_cselect_b32 s3, 4.0, 2.0
	s_cselect_b32 s28, 0x3e800000, 0.5
	v_rcp_f32_e32 v23, v23
	v_cmp_gt_f32_e64 s0, 0, v25
	s_cmp_eq_u32 s1, 0x45
	s_wait_alu 0xfffe
	v_fma_f32 v28, -v25, s28, 1.0
	v_cmp_gt_f32_e64 s1, s3, v25
	s_cselect_b32 s28, -1, 0
	v_div_scale_f32 v24, vcc_lo, 1.0, v21, 1.0
	v_cndmask_b32_e64 v28, v28, 1.0, s0
	s_wait_alu 0xf1ff
	v_cndmask_b32_e64 v29, 0, 1.0, s1
	s_wait_alu 0xfffe
	s_or_b32 s1, s28, s20
	s_cmp_gt_f32 s27, 0
	v_fma_f32 v30, v26, v23, 1.0
	v_cndmask_b32_e64 v27, 0, 0x42980000, s0
	v_mul_f32_e32 v28, v29, v28
	s_cselect_b32 s28, -1, 0
	s_cmp_neq_f32 s27, 0
	v_fmac_f32_e32 v23, v30, v23
	s_delay_alu instid0(VALU_DEP_2) | instskip(SKIP_2) | instid1(VALU_DEP_2)
	v_mul_f32_e32 v22, v22, v28
	s_cselect_b32 s29, -1, 0
	s_cmp_lt_f32 s27, 0
	v_mul_f32_e32 v28, v24, v23
	s_wait_alu 0xfffe
	v_cndmask_b32_e64 v22, v22, -|v22|, s1
	s_cselect_b32 s1, -1, 0
	s_wait_alu 0xfffe
	s_and_b32 s3, s1, exec_lo
	s_cselect_b32 s30, s23, s24
	v_fma_f32 v29, v26, v28, v24
	s_wait_alu 0xfffe
	v_div_scale_f32 v30, null, s30, s30, 1.0
	s_and_b32 s3, s1, s9
	s_xor_b32 s31, s27, 0x80000000
	v_fmac_f32_e32 v28, v29, v23
	v_rcp_f32_e32 v31, v30
	s_wait_alu 0xfffe
	s_and_b32 s3, s3, exec_lo
	v_cmp_gt_f32_e64 s3, s30, v25
	s_cselect_b32 s27, s31, s27
	v_fmac_f32_e32 v24, v26, v28
	v_xor_b32_e32 v26, 0x80000000, v30
	v_div_scale_f32 v30, s1, 1.0, s30, 1.0
	s_and_b32 s28, s28, s22
	s_delay_alu instid0(TRANS32_DEP_1)
	v_fma_f32 v29, v26, v31, 1.0
	s_wait_alu 0xfffe
	s_and_b32 s28, s28, exec_lo
	s_cselect_b32 s28, s26, s8
	s_add_co_i32 s21, s21, -1
	v_fmac_f32_e32 v31, v29, v31
	s_wait_alu 0xfffd
	v_div_fmas_f32 v23, v24, v23, v28
	s_mov_b32 vcc_lo, s1
	s_and_b32 s1, s29, s3
	s_wait_alu 0xfffe
	s_cmp_lg_u32 s21, 0
	v_mul_f32_e32 v29, v30, v31
	v_div_fixup_f32 v21, v23, v21, 1.0
	s_delay_alu instid0(VALU_DEP_2) | instskip(NEXT) | instid1(VALU_DEP_2)
	v_fma_f32 v32, v26, v29, v30
	v_fma_f32 v20, -v20, v21, 1.0
	s_delay_alu instid0(VALU_DEP_1) | instskip(NEXT) | instid1(VALU_DEP_1)
	v_fmac_f32_e32 v12, v20, v27
	v_dual_fmac_f32 v29, v32, v31 :: v_dual_fmac_f32 v12, 0x42340000, v22
	s_delay_alu instid0(VALU_DEP_1) | instskip(NEXT) | instid1(VALU_DEP_1)
	v_fmac_f32_e32 v30, v26, v29
	v_div_fmas_f32 v23, v30, v31, v29
	s_delay_alu instid0(VALU_DEP_1) | instskip(SKIP_2) | instid1(VALU_DEP_2)
	v_div_fixup_f32 v21, v23, s30, 1.0
	v_cndmask_b32_e64 v23, 0, 1.0, s1
	s_add_f32 s1, s27, s28
	v_fma_f32 v20, -v25, v21, 1.0
	s_wait_alu 0xfffe
	s_delay_alu instid0(VALU_DEP_2) | instid1(SALU_CYCLE_1)
	v_mul_f32_e32 v21, s1, v23
	s_delay_alu instid0(VALU_DEP_2) | instskip(NEXT) | instid1(VALU_DEP_1)
	v_cndmask_b32_e64 v20, v20, 1.0, s0
	v_fmac_f32_e32 v12, v21, v20
	s_cbranch_scc1 .LBB0_2
; %bb.3:                                ;   in Loop: Header=BB0_1 Depth=1
	s_add_co_i32 s16, s16, 1
	s_wait_alu 0xfffe
	s_cmp_lg_u32 s16, s18
	s_cbranch_scc1 .LBB0_1
; %bb.4:
	s_and_saveexec_b32 s0, s2
	s_cbranch_execz .LBB0_6
; %bb.5:
	v_dual_mov_b32 v5, 0 :: v_dual_mul_f32 v2, 0.5, v12
	s_delay_alu instid0(VALU_DEP_1) | instskip(NEXT) | instid1(VALU_DEP_1)
	v_lshlrev_b64_e32 v[0:1], 2, v[4:5]
	v_add_co_u32 v0, vcc_lo, s12, v0
	s_wait_alu 0xfffd
	s_delay_alu instid0(VALU_DEP_2)
	v_add_co_ci_u32_e64 v1, null, s13, v1, vcc_lo
	global_store_b32 v[0:1], v2, off
.LBB0_6:
	s_endpgm
	.section	.rodata,"a",@progbits
	.p2align	6, 0x0
	.amdhsa_kernel _ZL11fasten_mainILm1EEviiPK4AtomS2_PKfS4_S4_S4_S4_S4_PfPK8FFParamsi
		.amdhsa_group_segment_fixed_size 0
		.amdhsa_private_segment_fixed_size 0
		.amdhsa_kernarg_size 352
		.amdhsa_user_sgpr_count 2
		.amdhsa_user_sgpr_dispatch_ptr 0
		.amdhsa_user_sgpr_queue_ptr 0
		.amdhsa_user_sgpr_kernarg_segment_ptr 1
		.amdhsa_user_sgpr_dispatch_id 0
		.amdhsa_user_sgpr_private_segment_size 0
		.amdhsa_wavefront_size32 1
		.amdhsa_uses_dynamic_stack 0
		.amdhsa_enable_private_segment 0
		.amdhsa_system_sgpr_workgroup_id_x 1
		.amdhsa_system_sgpr_workgroup_id_y 0
		.amdhsa_system_sgpr_workgroup_id_z 0
		.amdhsa_system_sgpr_workgroup_info 0
		.amdhsa_system_vgpr_workitem_id 0
		.amdhsa_next_free_vgpr 45
		.amdhsa_next_free_sgpr 32
		.amdhsa_reserve_vcc 1
		.amdhsa_float_round_mode_32 0
		.amdhsa_float_round_mode_16_64 0
		.amdhsa_float_denorm_mode_32 3
		.amdhsa_float_denorm_mode_16_64 3
		.amdhsa_fp16_overflow 0
		.amdhsa_workgroup_processor_mode 1
		.amdhsa_memory_ordered 1
		.amdhsa_forward_progress 1
		.amdhsa_inst_pref_size 33
		.amdhsa_round_robin_scheduling 0
		.amdhsa_exception_fp_ieee_invalid_op 0
		.amdhsa_exception_fp_denorm_src 0
		.amdhsa_exception_fp_ieee_div_zero 0
		.amdhsa_exception_fp_ieee_overflow 0
		.amdhsa_exception_fp_ieee_underflow 0
		.amdhsa_exception_fp_ieee_inexact 0
		.amdhsa_exception_int_div_zero 0
	.end_amdhsa_kernel
	.section	.text._ZL11fasten_mainILm1EEviiPK4AtomS2_PKfS4_S4_S4_S4_S4_PfPK8FFParamsi,"axG",@progbits,_ZL11fasten_mainILm1EEviiPK4AtomS2_PKfS4_S4_S4_S4_S4_PfPK8FFParamsi,comdat
.Lfunc_end0:
	.size	_ZL11fasten_mainILm1EEviiPK4AtomS2_PKfS4_S4_S4_S4_S4_PfPK8FFParamsi, .Lfunc_end0-_ZL11fasten_mainILm1EEviiPK4AtomS2_PKfS4_S4_S4_S4_S4_PfPK8FFParamsi
                                        ; -- End function
	.set _ZL11fasten_mainILm1EEviiPK4AtomS2_PKfS4_S4_S4_S4_S4_PfPK8FFParamsi.num_vgpr, 45
	.set _ZL11fasten_mainILm1EEviiPK4AtomS2_PKfS4_S4_S4_S4_S4_PfPK8FFParamsi.num_agpr, 0
	.set _ZL11fasten_mainILm1EEviiPK4AtomS2_PKfS4_S4_S4_S4_S4_PfPK8FFParamsi.numbered_sgpr, 32
	.set _ZL11fasten_mainILm1EEviiPK4AtomS2_PKfS4_S4_S4_S4_S4_PfPK8FFParamsi.num_named_barrier, 0
	.set _ZL11fasten_mainILm1EEviiPK4AtomS2_PKfS4_S4_S4_S4_S4_PfPK8FFParamsi.private_seg_size, 0
	.set _ZL11fasten_mainILm1EEviiPK4AtomS2_PKfS4_S4_S4_S4_S4_PfPK8FFParamsi.uses_vcc, 1
	.set _ZL11fasten_mainILm1EEviiPK4AtomS2_PKfS4_S4_S4_S4_S4_PfPK8FFParamsi.uses_flat_scratch, 0
	.set _ZL11fasten_mainILm1EEviiPK4AtomS2_PKfS4_S4_S4_S4_S4_PfPK8FFParamsi.has_dyn_sized_stack, 0
	.set _ZL11fasten_mainILm1EEviiPK4AtomS2_PKfS4_S4_S4_S4_S4_PfPK8FFParamsi.has_recursion, 0
	.set _ZL11fasten_mainILm1EEviiPK4AtomS2_PKfS4_S4_S4_S4_S4_PfPK8FFParamsi.has_indirect_call, 0
	.section	.AMDGPU.csdata,"",@progbits
; Kernel info:
; codeLenInByte = 4108
; TotalNumSgprs: 34
; NumVgprs: 45
; ScratchSize: 0
; MemoryBound: 0
; FloatMode: 240
; IeeeMode: 1
; LDSByteSize: 0 bytes/workgroup (compile time only)
; SGPRBlocks: 0
; VGPRBlocks: 5
; NumSGPRsForWavesPerEU: 34
; NumVGPRsForWavesPerEU: 45
; Occupancy: 16
; WaveLimiterHint : 1
; COMPUTE_PGM_RSRC2:SCRATCH_EN: 0
; COMPUTE_PGM_RSRC2:USER_SGPR: 2
; COMPUTE_PGM_RSRC2:TRAP_HANDLER: 0
; COMPUTE_PGM_RSRC2:TGID_X_EN: 1
; COMPUTE_PGM_RSRC2:TGID_Y_EN: 0
; COMPUTE_PGM_RSRC2:TGID_Z_EN: 0
; COMPUTE_PGM_RSRC2:TIDIG_COMP_CNT: 0
	.section	.text._ZL11fasten_mainILm2EEviiPK4AtomS2_PKfS4_S4_S4_S4_S4_PfPK8FFParamsi,"axG",@progbits,_ZL11fasten_mainILm2EEviiPK4AtomS2_PKfS4_S4_S4_S4_S4_PfPK8FFParamsi,comdat
	.globl	_ZL11fasten_mainILm2EEviiPK4AtomS2_PKfS4_S4_S4_S4_S4_PfPK8FFParamsi ; -- Begin function _ZL11fasten_mainILm2EEviiPK4AtomS2_PKfS4_S4_S4_S4_S4_PfPK8FFParamsi
	.p2align	8
	.type	_ZL11fasten_mainILm2EEviiPK4AtomS2_PKfS4_S4_S4_S4_S4_PfPK8FFParamsi,@function
_ZL11fasten_mainILm2EEviiPK4AtomS2_PKfS4_S4_S4_S4_S4_PfPK8FFParamsi: ; @_ZL11fasten_mainILm2EEviiPK4AtomS2_PKfS4_S4_S4_S4_S4_PfPK8FFParamsi
; %bb.0:
	s_clause 0x2
	s_load_b32 s2, s[0:1], 0x6c
	s_load_b32 s3, s[0:1], 0x58
	s_load_b512 s[8:23], s[0:1], 0x8
	v_mov_b32_e32 v1, 0
	s_mov_b32 s7, 48
	s_mov_b32 s25, 0
	;; [unrolled: 1-line block ×4, first 2 shown]
	s_mov_b32 s30, -1
	s_mov_b32 s26, 0x7fffff
	s_mov_b32 s27, 0xb94c1982
	;; [unrolled: 1-line block ×4, first 2 shown]
	s_wait_kmcnt 0x0
	s_and_b32 s24, s2, 0xffff
	s_add_co_i32 s4, s3, -2
	s_mul_i32 s2, ttmp9, s24
	s_delay_alu instid0(SALU_CYCLE_1) | instskip(NEXT) | instid1(VALU_DEP_1)
	v_lshl_add_u32 v28, s2, 1, v0
	v_cmp_gt_i32_e64 s2, s3, v28
	s_wait_alu 0xf1ff
	s_delay_alu instid0(VALU_DEP_1) | instskip(NEXT) | instid1(VALU_DEP_1)
	v_cndmask_b32_e64 v4, s4, v28, s2
	v_ashrrev_i32_e32 v5, 31, v4
.LBB1_1:                                ; =>This Inner Loop Header: Depth=1
	s_wait_alu 0xfffe
	s_mul_i32 s3, s29, s24
                                        ; implicit-def: $vgpr9
                                        ; implicit-def: $vgpr8
	s_wait_alu 0xfffe
	v_add_co_u32 v2, vcc_lo, s3, v4
	s_wait_alu 0xfffd
	v_add_co_ci_u32_e64 v3, null, 0, v5, vcc_lo
	s_delay_alu instid0(VALU_DEP_1) | instskip(NEXT) | instid1(VALU_DEP_1)
	v_lshlrev_b64_e32 v[2:3], 2, v[2:3]
	v_add_co_u32 v6, vcc_lo, s12, v2
	s_wait_alu 0xfffd
	s_delay_alu instid0(VALU_DEP_2) | instskip(SKIP_4) | instid1(VALU_DEP_2)
	v_add_co_ci_u32_e64 v7, null, s13, v3, vcc_lo
	global_load_b32 v6, v[6:7], off
	s_wait_loadcnt 0x0
	v_and_b32_e32 v7, 0x7fffffff, v6
	v_cmp_ngt_f32_e64 s31, 0x48000000, |v6|
	v_lshrrev_b32_e32 v0, 23, v7
	v_and_or_b32 v11, v7, s26, 0x800000
	s_delay_alu instid0(VALU_DEP_2)
	v_add_nc_u32_e32 v13, 0xffffff88, v0
	s_and_saveexec_b32 s3, s31
	s_wait_alu 0xfffe
	s_xor_b32 s33, exec_lo, s3
	s_cbranch_execz .LBB1_3
; %bb.2:                                ;   in Loop: Header=BB1_1 Depth=1
	v_mad_co_u64_u32 v[8:9], null, 0xfe5163ab, v11, 0
	v_cmp_lt_u32_e32 vcc_lo, 63, v13
	s_delay_alu instid0(VALU_DEP_2) | instskip(NEXT) | instid1(VALU_DEP_1)
	v_mov_b32_e32 v0, v9
	v_mad_co_u64_u32 v[9:10], null, 0x3c439041, v11, v[0:1]
	s_delay_alu instid0(VALU_DEP_1) | instskip(SKIP_2) | instid1(VALU_DEP_2)
	v_mov_b32_e32 v0, v10
	s_wait_alu 0xfffd
	v_cndmask_b32_e64 v10, 0, 0xffffffc0, vcc_lo
	v_mad_co_u64_u32 v[14:15], null, 0xdb629599, v11, v[0:1]
	s_delay_alu instid0(VALU_DEP_2) | instskip(NEXT) | instid1(VALU_DEP_1)
	v_add_nc_u32_e32 v10, v10, v13
	v_cmp_lt_u32_e64 s3, 31, v10
	s_delay_alu instid0(VALU_DEP_3) | instskip(NEXT) | instid1(VALU_DEP_4)
	v_mov_b32_e32 v0, v15
	v_cndmask_b32_e32 v8, v14, v8, vcc_lo
	s_wait_alu 0xf1ff
	s_delay_alu instid0(VALU_DEP_3) | instskip(NEXT) | instid1(VALU_DEP_3)
	v_cndmask_b32_e64 v12, 0, 0xffffffe0, s3
	v_mad_co_u64_u32 v[15:16], null, 0xf534ddc0, v11, v[0:1]
	s_delay_alu instid0(VALU_DEP_2) | instskip(NEXT) | instid1(VALU_DEP_2)
	v_add_nc_u32_e32 v10, v12, v10
	v_mov_b32_e32 v0, v16
	s_delay_alu instid0(VALU_DEP_2) | instskip(NEXT) | instid1(VALU_DEP_4)
	v_cmp_lt_u32_e64 s4, 31, v10
	v_cndmask_b32_e32 v9, v15, v9, vcc_lo
	s_delay_alu instid0(VALU_DEP_3) | instskip(NEXT) | instid1(VALU_DEP_2)
	v_mad_co_u64_u32 v[16:17], null, 0xfc2757d1, v11, v[0:1]
	v_cndmask_b32_e64 v8, v9, v8, s3
	s_delay_alu instid0(VALU_DEP_2) | instskip(NEXT) | instid1(VALU_DEP_1)
	v_mov_b32_e32 v0, v17
	v_mad_co_u64_u32 v[17:18], null, 0x4e441529, v11, v[0:1]
	s_delay_alu instid0(VALU_DEP_1) | instskip(NEXT) | instid1(VALU_DEP_2)
	v_mov_b32_e32 v0, v18
	v_cndmask_b32_e32 v12, v17, v15, vcc_lo
	s_delay_alu instid0(VALU_DEP_2) | instskip(SKIP_2) | instid1(VALU_DEP_1)
	v_mad_co_u64_u32 v[18:19], null, 0xa2f9836e, v11, v[0:1]
	s_wait_alu 0xf1ff
	v_cndmask_b32_e64 v0, 0, 0xffffffe0, s4
	v_add_nc_u32_e32 v0, v0, v10
	s_delay_alu instid0(VALU_DEP_3) | instskip(SKIP_1) | instid1(VALU_DEP_3)
	v_dual_cndmask_b32 v18, v18, v16 :: v_dual_cndmask_b32 v17, v19, v17
	v_cndmask_b32_e32 v16, v16, v14, vcc_lo
	v_cmp_eq_u32_e32 vcc_lo, 0, v0
	s_delay_alu instid0(VALU_DEP_3) | instskip(NEXT) | instid1(VALU_DEP_4)
	v_cndmask_b32_e64 v10, v18, v12, s3
	v_cndmask_b32_e64 v15, v17, v18, s3
	s_delay_alu instid0(VALU_DEP_4) | instskip(SKIP_2) | instid1(VALU_DEP_4)
	v_cndmask_b32_e64 v12, v12, v16, s3
	v_sub_nc_u32_e32 v17, 32, v0
	v_cndmask_b32_e64 v16, v16, v9, s3
	v_cndmask_b32_e64 v15, v15, v10, s4
	s_delay_alu instid0(VALU_DEP_4) | instskip(NEXT) | instid1(VALU_DEP_3)
	v_cndmask_b32_e64 v10, v10, v12, s4
	v_cndmask_b32_e64 v12, v12, v16, s4
	;; [unrolled: 1-line block ×3, first 2 shown]
	s_delay_alu instid0(VALU_DEP_3) | instskip(NEXT) | instid1(VALU_DEP_3)
	v_alignbit_b32 v18, v15, v10, v17
	v_alignbit_b32 v14, v10, v12, v17
	s_delay_alu instid0(VALU_DEP_3) | instskip(SKIP_1) | instid1(VALU_DEP_3)
	v_alignbit_b32 v16, v12, v8, v17
	s_wait_alu 0xfffd
	v_cndmask_b32_e32 v0, v18, v15, vcc_lo
	s_delay_alu instid0(VALU_DEP_2) | instskip(NEXT) | instid1(VALU_DEP_2)
	v_dual_cndmask_b32 v9, v14, v10 :: v_dual_cndmask_b32 v12, v16, v12
	v_bfe_u32 v10, v0, 29, 1
	s_delay_alu instid0(VALU_DEP_2) | instskip(NEXT) | instid1(VALU_DEP_3)
	v_alignbit_b32 v14, v0, v9, 30
	v_alignbit_b32 v9, v9, v12, 30
	;; [unrolled: 1-line block ×3, first 2 shown]
	s_delay_alu instid0(VALU_DEP_4) | instskip(NEXT) | instid1(VALU_DEP_1)
	v_sub_nc_u32_e32 v15, 0, v10
	v_xor_b32_e32 v14, v14, v15
	s_delay_alu instid0(VALU_DEP_4) | instskip(NEXT) | instid1(VALU_DEP_4)
	v_xor_b32_e32 v9, v9, v15
	v_xor_b32_e32 v8, v8, v15
	v_lshrrev_b32_e32 v15, 29, v0
	v_lshrrev_b32_e32 v0, 30, v0
	v_clz_i32_u32_e32 v16, v14
	s_delay_alu instid0(VALU_DEP_1) | instskip(NEXT) | instid1(VALU_DEP_1)
	v_min_u32_e32 v16, 32, v16
	v_sub_nc_u32_e32 v12, 31, v16
	v_lshlrev_b32_e32 v17, 23, v16
	s_delay_alu instid0(VALU_DEP_2) | instskip(SKIP_2) | instid1(VALU_DEP_2)
	v_alignbit_b32 v14, v14, v9, v12
	v_alignbit_b32 v8, v9, v8, v12
	v_lshlrev_b32_e32 v9, 31, v15
	v_alignbit_b32 v12, v14, v8, 9
	s_delay_alu instid0(VALU_DEP_2) | instskip(SKIP_2) | instid1(VALU_DEP_4)
	v_or_b32_e32 v15, 0.5, v9
	v_lshrrev_b32_e32 v14, 9, v14
	v_or_b32_e32 v9, 0x33000000, v9
	v_clz_i32_u32_e32 v18, v12
	s_delay_alu instid0(VALU_DEP_4) | instskip(NEXT) | instid1(VALU_DEP_2)
	v_sub_nc_u32_e32 v15, v15, v17
	v_min_u32_e32 v17, 32, v18
	s_delay_alu instid0(VALU_DEP_2) | instskip(NEXT) | instid1(VALU_DEP_2)
	v_or_b32_e32 v14, v14, v15
	v_not_b32_e32 v15, v17
	s_delay_alu instid0(VALU_DEP_2) | instskip(SKIP_1) | instid1(VALU_DEP_3)
	v_mul_f32_e32 v18, 0x3fc90fda, v14
	v_add_lshl_u32 v16, v17, v16, 23
	v_alignbit_b32 v8, v12, v8, v15
	s_delay_alu instid0(VALU_DEP_3) | instskip(NEXT) | instid1(VALU_DEP_3)
	v_fma_f32 v12, 0x3fc90fda, v14, -v18
	v_sub_nc_u32_e32 v9, v9, v16
	s_delay_alu instid0(VALU_DEP_3) | instskip(NEXT) | instid1(VALU_DEP_3)
	v_lshrrev_b32_e32 v8, 9, v8
	v_fmac_f32_e32 v12, 0x33a22168, v14
	s_delay_alu instid0(VALU_DEP_2) | instskip(SKIP_1) | instid1(VALU_DEP_2)
	v_or_b32_e32 v8, v9, v8
	v_add_nc_u32_e32 v9, v10, v0
	v_fmac_f32_e32 v12, 0x3fc90fda, v8
	s_delay_alu instid0(VALU_DEP_1)
	v_add_f32_e32 v8, v18, v12
.LBB1_3:                                ;   in Loop: Header=BB1_1 Depth=1
	s_or_saveexec_b32 s3, s33
	v_mul_f32_e64 v0, 0x3f22f983, |v6|
	s_delay_alu instid0(VALU_DEP_1)
	v_rndne_f32_e32 v0, v0
	s_wait_alu 0xfffe
	s_xor_b32 exec_lo, exec_lo, s3
; %bb.4:                                ;   in Loop: Header=BB1_1 Depth=1
	s_delay_alu instid0(VALU_DEP_1) | instskip(SKIP_1) | instid1(VALU_DEP_2)
	v_fma_f32 v8, 0xbfc90fda, v0, |v6|
	v_cvt_i32_f32_e32 v9, v0
	v_fmac_f32_e32 v8, 0xb3a22168, v0
	s_delay_alu instid0(VALU_DEP_1)
	v_fmac_f32_e32 v8, 0xa7c234c4, v0
; %bb.5:                                ;   in Loop: Header=BB1_1 Depth=1
	s_or_b32 exec_lo, exec_lo, s3
                                        ; implicit-def: $vgpr12
                                        ; implicit-def: $vgpr10
	s_and_saveexec_b32 s3, s31
	s_wait_alu 0xfffe
	s_xor_b32 s31, exec_lo, s3
	s_cbranch_execz .LBB1_7
; %bb.6:                                ;   in Loop: Header=BB1_1 Depth=1
	v_mad_co_u64_u32 v[14:15], null, 0xfe5163ab, v11, 0
	v_cmp_lt_u32_e32 vcc_lo, 63, v13
	s_wait_alu 0xfffd
	v_cndmask_b32_e64 v10, 0, 0xffffffc0, vcc_lo
	s_delay_alu instid0(VALU_DEP_3) | instskip(NEXT) | instid1(VALU_DEP_2)
	v_mov_b32_e32 v0, v15
	v_add_nc_u32_e32 v10, v10, v13
	s_delay_alu instid0(VALU_DEP_2) | instskip(NEXT) | instid1(VALU_DEP_2)
	v_mad_co_u64_u32 v[15:16], null, 0x3c439041, v11, v[0:1]
	v_cmp_lt_u32_e64 s3, 31, v10
	s_delay_alu instid0(VALU_DEP_2) | instskip(NEXT) | instid1(VALU_DEP_1)
	v_mov_b32_e32 v0, v16
	v_mad_co_u64_u32 v[16:17], null, 0xdb629599, v11, v[0:1]
	s_delay_alu instid0(VALU_DEP_1) | instskip(NEXT) | instid1(VALU_DEP_2)
	v_mov_b32_e32 v0, v17
	v_cndmask_b32_e32 v14, v16, v14, vcc_lo
	s_delay_alu instid0(VALU_DEP_2) | instskip(NEXT) | instid1(VALU_DEP_1)
	v_mad_co_u64_u32 v[17:18], null, 0xf534ddc0, v11, v[0:1]
	v_mov_b32_e32 v0, v18
	s_delay_alu instid0(VALU_DEP_1) | instskip(NEXT) | instid1(VALU_DEP_1)
	v_mad_co_u64_u32 v[18:19], null, 0xfc2757d1, v11, v[0:1]
	v_mov_b32_e32 v0, v19
	s_wait_alu 0xf1ff
	v_cndmask_b32_e64 v19, 0, 0xffffffe0, s3
	s_delay_alu instid0(VALU_DEP_2) | instskip(NEXT) | instid1(VALU_DEP_1)
	v_mad_co_u64_u32 v[12:13], null, 0x4e441529, v11, v[0:1]
	v_dual_mov_b32 v0, v13 :: v_dual_add_nc_u32 v13, v19, v10
	s_delay_alu instid0(VALU_DEP_2) | instskip(NEXT) | instid1(VALU_DEP_2)
	v_cndmask_b32_e32 v19, v12, v17, vcc_lo
	v_mad_co_u64_u32 v[10:11], null, 0xa2f9836e, v11, v[0:1]
	s_delay_alu instid0(VALU_DEP_3) | instskip(SKIP_1) | instid1(VALU_DEP_1)
	v_cmp_lt_u32_e64 s4, 31, v13
	s_wait_alu 0xf1ff
	v_cndmask_b32_e64 v0, 0, 0xffffffe0, s4
	s_delay_alu instid0(VALU_DEP_3) | instskip(SKIP_1) | instid1(VALU_DEP_3)
	v_dual_cndmask_b32 v10, v10, v18 :: v_dual_cndmask_b32 v11, v11, v12
	v_cndmask_b32_e32 v12, v18, v16, vcc_lo
	v_dual_cndmask_b32 v13, v17, v15 :: v_dual_add_nc_u32 v0, v0, v13
	s_delay_alu instid0(VALU_DEP_3) | instskip(NEXT) | instid1(VALU_DEP_4)
	v_cndmask_b32_e64 v15, v10, v19, s3
	v_cndmask_b32_e64 v10, v11, v10, s3
	s_delay_alu instid0(VALU_DEP_4) | instskip(NEXT) | instid1(VALU_DEP_4)
	v_cndmask_b32_e64 v11, v19, v12, s3
	v_sub_nc_u32_e32 v17, 32, v0
	v_cndmask_b32_e64 v12, v12, v13, s3
	v_cmp_eq_u32_e32 vcc_lo, 0, v0
	v_cndmask_b32_e64 v10, v10, v15, s4
	v_cndmask_b32_e64 v15, v15, v11, s4
	s_delay_alu instid0(VALU_DEP_4) | instskip(NEXT) | instid1(VALU_DEP_2)
	v_cndmask_b32_e64 v11, v11, v12, s4
	v_alignbit_b32 v18, v10, v15, v17
	s_delay_alu instid0(VALU_DEP_2) | instskip(SKIP_1) | instid1(VALU_DEP_2)
	v_alignbit_b32 v16, v15, v11, v17
	s_wait_alu 0xfffd
	v_cndmask_b32_e32 v0, v18, v10, vcc_lo
	v_cndmask_b32_e64 v10, v13, v14, s3
	s_delay_alu instid0(VALU_DEP_3) | instskip(NEXT) | instid1(VALU_DEP_3)
	v_cndmask_b32_e32 v13, v16, v15, vcc_lo
	v_bfe_u32 v14, v0, 29, 1
	s_delay_alu instid0(VALU_DEP_3) | instskip(NEXT) | instid1(VALU_DEP_3)
	v_cndmask_b32_e64 v10, v12, v10, s4
	v_alignbit_b32 v12, v0, v13, 30
	s_delay_alu instid0(VALU_DEP_3) | instskip(NEXT) | instid1(VALU_DEP_3)
	v_sub_nc_u32_e32 v15, 0, v14
	v_alignbit_b32 v16, v11, v10, v17
	s_delay_alu instid0(VALU_DEP_2) | instskip(NEXT) | instid1(VALU_DEP_2)
	v_xor_b32_e32 v12, v12, v15
	v_cndmask_b32_e32 v11, v16, v11, vcc_lo
	s_delay_alu instid0(VALU_DEP_2) | instskip(NEXT) | instid1(VALU_DEP_2)
	v_clz_i32_u32_e32 v16, v12
	v_alignbit_b32 v13, v13, v11, 30
	v_alignbit_b32 v10, v11, v10, 30
	s_delay_alu instid0(VALU_DEP_3) | instskip(NEXT) | instid1(VALU_DEP_3)
	v_min_u32_e32 v16, 32, v16
	v_xor_b32_e32 v11, v13, v15
	s_delay_alu instid0(VALU_DEP_3) | instskip(SKIP_4) | instid1(VALU_DEP_2)
	v_xor_b32_e32 v10, v10, v15
	v_lshrrev_b32_e32 v15, 29, v0
	v_lshrrev_b32_e32 v0, 30, v0
	v_sub_nc_u32_e32 v13, 31, v16
	v_lshlrev_b32_e32 v17, 23, v16
	v_alignbit_b32 v12, v12, v11, v13
	v_alignbit_b32 v10, v11, v10, v13
	v_lshlrev_b32_e32 v11, 31, v15
	s_delay_alu instid0(VALU_DEP_2) | instskip(NEXT) | instid1(VALU_DEP_2)
	v_alignbit_b32 v13, v12, v10, 9
	v_or_b32_e32 v15, 0.5, v11
	v_lshrrev_b32_e32 v12, 9, v12
	v_or_b32_e32 v11, 0x33000000, v11
	s_delay_alu instid0(VALU_DEP_4) | instskip(NEXT) | instid1(VALU_DEP_4)
	v_clz_i32_u32_e32 v18, v13
	v_sub_nc_u32_e32 v15, v15, v17
	s_delay_alu instid0(VALU_DEP_2) | instskip(NEXT) | instid1(VALU_DEP_2)
	v_min_u32_e32 v17, 32, v18
	v_or_b32_e32 v12, v12, v15
	s_delay_alu instid0(VALU_DEP_2) | instskip(NEXT) | instid1(VALU_DEP_2)
	v_not_b32_e32 v15, v17
	v_mul_f32_e32 v18, 0x3fc90fda, v12
	v_add_lshl_u32 v16, v17, v16, 23
	s_delay_alu instid0(VALU_DEP_3) | instskip(NEXT) | instid1(VALU_DEP_3)
	v_alignbit_b32 v10, v13, v10, v15
	v_fma_f32 v13, 0x3fc90fda, v12, -v18
	s_delay_alu instid0(VALU_DEP_3) | instskip(NEXT) | instid1(VALU_DEP_3)
	v_sub_nc_u32_e32 v11, v11, v16
	v_lshrrev_b32_e32 v10, 9, v10
	s_delay_alu instid0(VALU_DEP_3) | instskip(SKIP_1) | instid1(VALU_DEP_3)
	v_fmac_f32_e32 v13, 0x33a22168, v12
	v_add_nc_u32_e32 v12, v14, v0
                                        ; implicit-def: $vgpr0
	v_or_b32_e32 v10, v11, v10
	s_delay_alu instid0(VALU_DEP_1) | instskip(NEXT) | instid1(VALU_DEP_1)
	v_fmac_f32_e32 v13, 0x3fc90fda, v10
	v_add_f32_e32 v10, v18, v13
	s_and_not1_saveexec_b32 s3, s31
	s_cbranch_execnz .LBB1_8
	s_branch .LBB1_9
.LBB1_7:                                ;   in Loop: Header=BB1_1 Depth=1
	s_and_not1_saveexec_b32 s3, s31
.LBB1_8:                                ;   in Loop: Header=BB1_1 Depth=1
	v_fma_f32 v10, 0xbfc90fda, v0, |v6|
	v_cvt_i32_f32_e32 v12, v0
	s_delay_alu instid0(VALU_DEP_2) | instskip(NEXT) | instid1(VALU_DEP_1)
	v_fmac_f32_e32 v10, 0xb3a22168, v0
	v_fmac_f32_e32 v10, 0xa7c234c4, v0
.LBB1_9:                                ;   in Loop: Header=BB1_1 Depth=1
	s_wait_alu 0xfffe
	s_or_b32 exec_lo, exec_lo, s3
	v_add_co_u32 v13, vcc_lo, s14, v2
	s_wait_alu 0xfffd
	v_add_co_ci_u32_e64 v14, null, s15, v3, vcc_lo
                                        ; implicit-def: $vgpr15
	global_load_b32 v11, v[13:14], off
                                        ; implicit-def: $vgpr14
	s_wait_loadcnt 0x0
	v_and_b32_e32 v13, 0x7fffffff, v11
	v_cmp_ngt_f32_e64 s31, 0x48000000, |v11|
	s_delay_alu instid0(VALU_DEP_2) | instskip(SKIP_1) | instid1(VALU_DEP_2)
	v_lshrrev_b32_e32 v0, 23, v13
	v_and_or_b32 v17, v13, s26, 0x800000
	v_add_nc_u32_e32 v19, 0xffffff88, v0
	s_and_saveexec_b32 s3, s31
	s_wait_alu 0xfffe
	s_xor_b32 s33, exec_lo, s3
	s_cbranch_execz .LBB1_11
; %bb.10:                               ;   in Loop: Header=BB1_1 Depth=1
	v_mad_co_u64_u32 v[14:15], null, 0xfe5163ab, v17, 0
	v_cmp_lt_u32_e32 vcc_lo, 63, v19
	s_delay_alu instid0(VALU_DEP_2) | instskip(NEXT) | instid1(VALU_DEP_1)
	v_mov_b32_e32 v0, v15
	v_mad_co_u64_u32 v[15:16], null, 0x3c439041, v17, v[0:1]
	s_delay_alu instid0(VALU_DEP_1) | instskip(SKIP_2) | instid1(VALU_DEP_2)
	v_mov_b32_e32 v0, v16
	s_wait_alu 0xfffd
	v_cndmask_b32_e64 v16, 0, 0xffffffc0, vcc_lo
	v_mad_co_u64_u32 v[20:21], null, 0xdb629599, v17, v[0:1]
	s_delay_alu instid0(VALU_DEP_2) | instskip(NEXT) | instid1(VALU_DEP_1)
	v_add_nc_u32_e32 v16, v16, v19
	v_cmp_lt_u32_e64 s3, 31, v16
	s_delay_alu instid0(VALU_DEP_3) | instskip(NEXT) | instid1(VALU_DEP_4)
	v_mov_b32_e32 v0, v21
	v_cndmask_b32_e32 v14, v20, v14, vcc_lo
	s_wait_alu 0xf1ff
	s_delay_alu instid0(VALU_DEP_3) | instskip(NEXT) | instid1(VALU_DEP_3)
	v_cndmask_b32_e64 v18, 0, 0xffffffe0, s3
	v_mad_co_u64_u32 v[21:22], null, 0xf534ddc0, v17, v[0:1]
	s_delay_alu instid0(VALU_DEP_2) | instskip(NEXT) | instid1(VALU_DEP_2)
	v_add_nc_u32_e32 v16, v18, v16
	v_mov_b32_e32 v0, v22
	s_delay_alu instid0(VALU_DEP_2) | instskip(NEXT) | instid1(VALU_DEP_4)
	v_cmp_lt_u32_e64 s4, 31, v16
	v_cndmask_b32_e32 v15, v21, v15, vcc_lo
	s_delay_alu instid0(VALU_DEP_3) | instskip(NEXT) | instid1(VALU_DEP_2)
	v_mad_co_u64_u32 v[22:23], null, 0xfc2757d1, v17, v[0:1]
	v_cndmask_b32_e64 v14, v15, v14, s3
	s_delay_alu instid0(VALU_DEP_2) | instskip(NEXT) | instid1(VALU_DEP_1)
	v_mov_b32_e32 v0, v23
	v_mad_co_u64_u32 v[23:24], null, 0x4e441529, v17, v[0:1]
	s_delay_alu instid0(VALU_DEP_1) | instskip(NEXT) | instid1(VALU_DEP_2)
	v_mov_b32_e32 v0, v24
	v_cndmask_b32_e32 v18, v23, v21, vcc_lo
	s_delay_alu instid0(VALU_DEP_2) | instskip(SKIP_2) | instid1(VALU_DEP_1)
	v_mad_co_u64_u32 v[24:25], null, 0xa2f9836e, v17, v[0:1]
	s_wait_alu 0xf1ff
	v_cndmask_b32_e64 v0, 0, 0xffffffe0, s4
	v_add_nc_u32_e32 v0, v0, v16
	s_delay_alu instid0(VALU_DEP_3) | instskip(SKIP_1) | instid1(VALU_DEP_3)
	v_dual_cndmask_b32 v24, v24, v22 :: v_dual_cndmask_b32 v23, v25, v23
	v_cndmask_b32_e32 v22, v22, v20, vcc_lo
	v_cmp_eq_u32_e32 vcc_lo, 0, v0
	s_delay_alu instid0(VALU_DEP_3) | instskip(NEXT) | instid1(VALU_DEP_4)
	v_cndmask_b32_e64 v16, v24, v18, s3
	v_cndmask_b32_e64 v21, v23, v24, s3
	s_delay_alu instid0(VALU_DEP_4) | instskip(SKIP_2) | instid1(VALU_DEP_4)
	v_cndmask_b32_e64 v18, v18, v22, s3
	v_sub_nc_u32_e32 v23, 32, v0
	v_cndmask_b32_e64 v22, v22, v15, s3
	v_cndmask_b32_e64 v21, v21, v16, s4
	s_delay_alu instid0(VALU_DEP_4) | instskip(NEXT) | instid1(VALU_DEP_3)
	v_cndmask_b32_e64 v16, v16, v18, s4
	v_cndmask_b32_e64 v18, v18, v22, s4
	;; [unrolled: 1-line block ×3, first 2 shown]
	s_delay_alu instid0(VALU_DEP_3) | instskip(NEXT) | instid1(VALU_DEP_3)
	v_alignbit_b32 v24, v21, v16, v23
	v_alignbit_b32 v20, v16, v18, v23
	s_delay_alu instid0(VALU_DEP_3) | instskip(SKIP_1) | instid1(VALU_DEP_3)
	v_alignbit_b32 v22, v18, v14, v23
	s_wait_alu 0xfffd
	v_cndmask_b32_e32 v0, v24, v21, vcc_lo
	s_delay_alu instid0(VALU_DEP_2) | instskip(NEXT) | instid1(VALU_DEP_2)
	v_dual_cndmask_b32 v15, v20, v16 :: v_dual_cndmask_b32 v18, v22, v18
	v_bfe_u32 v16, v0, 29, 1
	s_delay_alu instid0(VALU_DEP_2) | instskip(NEXT) | instid1(VALU_DEP_3)
	v_alignbit_b32 v20, v0, v15, 30
	v_alignbit_b32 v15, v15, v18, 30
	;; [unrolled: 1-line block ×3, first 2 shown]
	s_delay_alu instid0(VALU_DEP_4) | instskip(NEXT) | instid1(VALU_DEP_1)
	v_sub_nc_u32_e32 v21, 0, v16
	v_xor_b32_e32 v20, v20, v21
	s_delay_alu instid0(VALU_DEP_4) | instskip(NEXT) | instid1(VALU_DEP_4)
	v_xor_b32_e32 v15, v15, v21
	v_xor_b32_e32 v14, v14, v21
	v_lshrrev_b32_e32 v21, 29, v0
	v_lshrrev_b32_e32 v0, 30, v0
	v_clz_i32_u32_e32 v22, v20
	s_delay_alu instid0(VALU_DEP_1) | instskip(NEXT) | instid1(VALU_DEP_1)
	v_min_u32_e32 v22, 32, v22
	v_sub_nc_u32_e32 v18, 31, v22
	v_lshlrev_b32_e32 v23, 23, v22
	s_delay_alu instid0(VALU_DEP_2) | instskip(SKIP_2) | instid1(VALU_DEP_2)
	v_alignbit_b32 v20, v20, v15, v18
	v_alignbit_b32 v14, v15, v14, v18
	v_lshlrev_b32_e32 v15, 31, v21
	v_alignbit_b32 v18, v20, v14, 9
	s_delay_alu instid0(VALU_DEP_2) | instskip(SKIP_2) | instid1(VALU_DEP_4)
	v_or_b32_e32 v21, 0.5, v15
	v_lshrrev_b32_e32 v20, 9, v20
	v_or_b32_e32 v15, 0x33000000, v15
	v_clz_i32_u32_e32 v24, v18
	s_delay_alu instid0(VALU_DEP_4) | instskip(NEXT) | instid1(VALU_DEP_2)
	v_sub_nc_u32_e32 v21, v21, v23
	v_min_u32_e32 v23, 32, v24
	s_delay_alu instid0(VALU_DEP_2) | instskip(NEXT) | instid1(VALU_DEP_2)
	v_or_b32_e32 v20, v20, v21
	v_not_b32_e32 v21, v23
	s_delay_alu instid0(VALU_DEP_2) | instskip(SKIP_1) | instid1(VALU_DEP_3)
	v_mul_f32_e32 v24, 0x3fc90fda, v20
	v_add_lshl_u32 v22, v23, v22, 23
	v_alignbit_b32 v14, v18, v14, v21
	s_delay_alu instid0(VALU_DEP_3) | instskip(NEXT) | instid1(VALU_DEP_3)
	v_fma_f32 v18, 0x3fc90fda, v20, -v24
	v_sub_nc_u32_e32 v15, v15, v22
	s_delay_alu instid0(VALU_DEP_3) | instskip(NEXT) | instid1(VALU_DEP_3)
	v_lshrrev_b32_e32 v14, 9, v14
	v_fmac_f32_e32 v18, 0x33a22168, v20
	s_delay_alu instid0(VALU_DEP_2) | instskip(NEXT) | instid1(VALU_DEP_1)
	v_or_b32_e32 v14, v15, v14
	v_dual_fmac_f32 v18, 0x3fc90fda, v14 :: v_dual_add_nc_u32 v15, v16, v0
	s_delay_alu instid0(VALU_DEP_1)
	v_add_f32_e32 v14, v24, v18
.LBB1_11:                               ;   in Loop: Header=BB1_1 Depth=1
	s_or_saveexec_b32 s3, s33
	v_mul_f32_e64 v0, 0x3f22f983, |v11|
	s_delay_alu instid0(VALU_DEP_1)
	v_rndne_f32_e32 v0, v0
	s_wait_alu 0xfffe
	s_xor_b32 exec_lo, exec_lo, s3
; %bb.12:                               ;   in Loop: Header=BB1_1 Depth=1
	s_delay_alu instid0(VALU_DEP_1) | instskip(SKIP_1) | instid1(VALU_DEP_2)
	v_fma_f32 v14, 0xbfc90fda, v0, |v11|
	v_cvt_i32_f32_e32 v15, v0
	v_fmac_f32_e32 v14, 0xb3a22168, v0
	s_delay_alu instid0(VALU_DEP_1)
	v_fmac_f32_e32 v14, 0xa7c234c4, v0
; %bb.13:                               ;   in Loop: Header=BB1_1 Depth=1
	s_or_b32 exec_lo, exec_lo, s3
                                        ; implicit-def: $vgpr18
                                        ; implicit-def: $vgpr16
	s_and_saveexec_b32 s3, s31
	s_wait_alu 0xfffe
	s_xor_b32 s31, exec_lo, s3
	s_cbranch_execz .LBB1_15
; %bb.14:                               ;   in Loop: Header=BB1_1 Depth=1
	v_mad_co_u64_u32 v[20:21], null, 0xfe5163ab, v17, 0
	v_cmp_lt_u32_e32 vcc_lo, 63, v19
	s_wait_alu 0xfffd
	v_cndmask_b32_e64 v16, 0, 0xffffffc0, vcc_lo
	s_delay_alu instid0(VALU_DEP_3) | instskip(NEXT) | instid1(VALU_DEP_2)
	v_mov_b32_e32 v0, v21
	v_add_nc_u32_e32 v16, v16, v19
	s_delay_alu instid0(VALU_DEP_2) | instskip(NEXT) | instid1(VALU_DEP_2)
	v_mad_co_u64_u32 v[21:22], null, 0x3c439041, v17, v[0:1]
	v_cmp_lt_u32_e64 s3, 31, v16
	s_delay_alu instid0(VALU_DEP_2) | instskip(NEXT) | instid1(VALU_DEP_1)
	v_mov_b32_e32 v0, v22
	v_mad_co_u64_u32 v[22:23], null, 0xdb629599, v17, v[0:1]
	s_delay_alu instid0(VALU_DEP_1) | instskip(NEXT) | instid1(VALU_DEP_2)
	v_mov_b32_e32 v0, v23
	v_cndmask_b32_e32 v20, v22, v20, vcc_lo
	s_delay_alu instid0(VALU_DEP_2) | instskip(NEXT) | instid1(VALU_DEP_1)
	v_mad_co_u64_u32 v[23:24], null, 0xf534ddc0, v17, v[0:1]
	v_mov_b32_e32 v0, v24
	s_delay_alu instid0(VALU_DEP_1) | instskip(NEXT) | instid1(VALU_DEP_1)
	v_mad_co_u64_u32 v[24:25], null, 0xfc2757d1, v17, v[0:1]
	v_mov_b32_e32 v0, v25
	s_wait_alu 0xf1ff
	v_cndmask_b32_e64 v25, 0, 0xffffffe0, s3
	s_delay_alu instid0(VALU_DEP_2) | instskip(NEXT) | instid1(VALU_DEP_1)
	v_mad_co_u64_u32 v[18:19], null, 0x4e441529, v17, v[0:1]
	v_dual_mov_b32 v0, v19 :: v_dual_add_nc_u32 v19, v25, v16
	s_delay_alu instid0(VALU_DEP_2) | instskip(NEXT) | instid1(VALU_DEP_2)
	v_cndmask_b32_e32 v25, v18, v23, vcc_lo
	v_mad_co_u64_u32 v[16:17], null, 0xa2f9836e, v17, v[0:1]
	s_delay_alu instid0(VALU_DEP_3) | instskip(SKIP_1) | instid1(VALU_DEP_1)
	v_cmp_lt_u32_e64 s4, 31, v19
	s_wait_alu 0xf1ff
	v_cndmask_b32_e64 v0, 0, 0xffffffe0, s4
	s_delay_alu instid0(VALU_DEP_3) | instskip(SKIP_1) | instid1(VALU_DEP_3)
	v_dual_cndmask_b32 v16, v16, v24 :: v_dual_cndmask_b32 v17, v17, v18
	v_cndmask_b32_e32 v18, v24, v22, vcc_lo
	v_dual_cndmask_b32 v19, v23, v21 :: v_dual_add_nc_u32 v0, v0, v19
	s_delay_alu instid0(VALU_DEP_3) | instskip(NEXT) | instid1(VALU_DEP_4)
	v_cndmask_b32_e64 v21, v16, v25, s3
	v_cndmask_b32_e64 v16, v17, v16, s3
	s_delay_alu instid0(VALU_DEP_4) | instskip(NEXT) | instid1(VALU_DEP_4)
	v_cndmask_b32_e64 v17, v25, v18, s3
	v_sub_nc_u32_e32 v23, 32, v0
	v_cndmask_b32_e64 v18, v18, v19, s3
	v_cmp_eq_u32_e32 vcc_lo, 0, v0
	v_cndmask_b32_e64 v16, v16, v21, s4
	v_cndmask_b32_e64 v21, v21, v17, s4
	s_delay_alu instid0(VALU_DEP_4) | instskip(NEXT) | instid1(VALU_DEP_2)
	v_cndmask_b32_e64 v17, v17, v18, s4
	v_alignbit_b32 v24, v16, v21, v23
	s_delay_alu instid0(VALU_DEP_2) | instskip(SKIP_1) | instid1(VALU_DEP_2)
	v_alignbit_b32 v22, v21, v17, v23
	s_wait_alu 0xfffd
	v_cndmask_b32_e32 v0, v24, v16, vcc_lo
	v_cndmask_b32_e64 v16, v19, v20, s3
	s_delay_alu instid0(VALU_DEP_3) | instskip(NEXT) | instid1(VALU_DEP_3)
	v_cndmask_b32_e32 v19, v22, v21, vcc_lo
	v_bfe_u32 v20, v0, 29, 1
	s_delay_alu instid0(VALU_DEP_3) | instskip(NEXT) | instid1(VALU_DEP_3)
	v_cndmask_b32_e64 v16, v18, v16, s4
	v_alignbit_b32 v18, v0, v19, 30
	s_delay_alu instid0(VALU_DEP_3) | instskip(NEXT) | instid1(VALU_DEP_3)
	v_sub_nc_u32_e32 v21, 0, v20
	v_alignbit_b32 v22, v17, v16, v23
	s_delay_alu instid0(VALU_DEP_2) | instskip(NEXT) | instid1(VALU_DEP_2)
	v_xor_b32_e32 v18, v18, v21
	v_cndmask_b32_e32 v17, v22, v17, vcc_lo
	s_delay_alu instid0(VALU_DEP_2) | instskip(NEXT) | instid1(VALU_DEP_2)
	v_clz_i32_u32_e32 v22, v18
	v_alignbit_b32 v19, v19, v17, 30
	v_alignbit_b32 v16, v17, v16, 30
	s_delay_alu instid0(VALU_DEP_3) | instskip(NEXT) | instid1(VALU_DEP_3)
	v_min_u32_e32 v22, 32, v22
	v_xor_b32_e32 v17, v19, v21
	s_delay_alu instid0(VALU_DEP_3) | instskip(SKIP_4) | instid1(VALU_DEP_2)
	v_xor_b32_e32 v16, v16, v21
	v_lshrrev_b32_e32 v21, 29, v0
	v_lshrrev_b32_e32 v0, 30, v0
	v_sub_nc_u32_e32 v19, 31, v22
	v_lshlrev_b32_e32 v23, 23, v22
	v_alignbit_b32 v18, v18, v17, v19
	v_alignbit_b32 v16, v17, v16, v19
	v_lshlrev_b32_e32 v17, 31, v21
	s_delay_alu instid0(VALU_DEP_2) | instskip(NEXT) | instid1(VALU_DEP_2)
	v_alignbit_b32 v19, v18, v16, 9
	v_or_b32_e32 v21, 0.5, v17
	v_lshrrev_b32_e32 v18, 9, v18
	v_or_b32_e32 v17, 0x33000000, v17
	s_delay_alu instid0(VALU_DEP_4) | instskip(NEXT) | instid1(VALU_DEP_4)
	v_clz_i32_u32_e32 v24, v19
	v_sub_nc_u32_e32 v21, v21, v23
	s_delay_alu instid0(VALU_DEP_2) | instskip(NEXT) | instid1(VALU_DEP_2)
	v_min_u32_e32 v23, 32, v24
	v_or_b32_e32 v18, v18, v21
	s_delay_alu instid0(VALU_DEP_2) | instskip(NEXT) | instid1(VALU_DEP_2)
	v_not_b32_e32 v21, v23
	v_mul_f32_e32 v24, 0x3fc90fda, v18
	v_add_lshl_u32 v22, v23, v22, 23
	s_delay_alu instid0(VALU_DEP_3) | instskip(NEXT) | instid1(VALU_DEP_3)
	v_alignbit_b32 v16, v19, v16, v21
	v_fma_f32 v19, 0x3fc90fda, v18, -v24
	s_delay_alu instid0(VALU_DEP_3) | instskip(NEXT) | instid1(VALU_DEP_3)
	v_sub_nc_u32_e32 v17, v17, v22
	v_lshrrev_b32_e32 v16, 9, v16
	s_delay_alu instid0(VALU_DEP_3) | instskip(NEXT) | instid1(VALU_DEP_2)
	v_dual_fmac_f32 v19, 0x33a22168, v18 :: v_dual_add_nc_u32 v18, v20, v0
                                        ; implicit-def: $vgpr0
	v_or_b32_e32 v16, v17, v16
	s_delay_alu instid0(VALU_DEP_1) | instskip(NEXT) | instid1(VALU_DEP_1)
	v_fmac_f32_e32 v19, 0x3fc90fda, v16
	v_add_f32_e32 v16, v24, v19
	s_and_not1_saveexec_b32 s3, s31
	s_cbranch_execnz .LBB1_16
	s_branch .LBB1_17
.LBB1_15:                               ;   in Loop: Header=BB1_1 Depth=1
	s_and_not1_saveexec_b32 s3, s31
.LBB1_16:                               ;   in Loop: Header=BB1_1 Depth=1
	v_fma_f32 v16, 0xbfc90fda, v0, |v11|
	v_cvt_i32_f32_e32 v18, v0
	s_delay_alu instid0(VALU_DEP_2) | instskip(NEXT) | instid1(VALU_DEP_1)
	v_fmac_f32_e32 v16, 0xb3a22168, v0
	v_fmac_f32_e32 v16, 0xa7c234c4, v0
.LBB1_17:                               ;   in Loop: Header=BB1_1 Depth=1
	s_wait_alu 0xfffe
	s_or_b32 exec_lo, exec_lo, s3
	v_add_co_u32 v19, vcc_lo, s16, v2
	s_wait_alu 0xfffd
	v_add_co_ci_u32_e64 v20, null, s17, v3, vcc_lo
                                        ; implicit-def: $vgpr21
	global_load_b32 v17, v[19:20], off
                                        ; implicit-def: $vgpr20
	s_wait_loadcnt 0x0
	v_and_b32_e32 v19, 0x7fffffff, v17
	v_cmp_ngt_f32_e64 s31, 0x48000000, |v17|
	s_delay_alu instid0(VALU_DEP_2) | instskip(SKIP_1) | instid1(VALU_DEP_2)
	v_lshrrev_b32_e32 v0, 23, v19
	v_and_or_b32 v22, v19, s26, 0x800000
	v_add_nc_u32_e32 v23, 0xffffff88, v0
	s_and_saveexec_b32 s3, s31
	s_wait_alu 0xfffe
	s_xor_b32 s33, exec_lo, s3
	s_cbranch_execz .LBB1_19
; %bb.18:                               ;   in Loop: Header=BB1_1 Depth=1
	v_mad_co_u64_u32 v[20:21], null, 0xfe5163ab, v22, 0
	v_cmp_lt_u32_e32 vcc_lo, 63, v23
	s_delay_alu instid0(VALU_DEP_2) | instskip(SKIP_2) | instid1(VALU_DEP_2)
	v_mov_b32_e32 v0, v21
	s_wait_alu 0xfffd
	v_cndmask_b32_e64 v21, 0, 0xffffffc0, vcc_lo
	v_mad_co_u64_u32 v[24:25], null, 0x3c439041, v22, v[0:1]
	s_delay_alu instid0(VALU_DEP_2) | instskip(NEXT) | instid1(VALU_DEP_1)
	v_add_nc_u32_e32 v21, v21, v23
	v_cmp_lt_u32_e64 s3, 31, v21
	s_delay_alu instid0(VALU_DEP_3) | instskip(NEXT) | instid1(VALU_DEP_1)
	v_mov_b32_e32 v0, v25
	v_mad_co_u64_u32 v[25:26], null, 0xdb629599, v22, v[0:1]
	s_delay_alu instid0(VALU_DEP_1) | instskip(NEXT) | instid1(VALU_DEP_2)
	v_mov_b32_e32 v0, v26
	v_cndmask_b32_e32 v20, v25, v20, vcc_lo
	s_delay_alu instid0(VALU_DEP_2) | instskip(NEXT) | instid1(VALU_DEP_1)
	v_mad_co_u64_u32 v[26:27], null, 0xf534ddc0, v22, v[0:1]
	v_mov_b32_e32 v0, v27
	s_wait_alu 0xf1ff
	v_cndmask_b32_e64 v27, 0, 0xffffffe0, s3
	s_delay_alu instid0(VALU_DEP_2) | instskip(NEXT) | instid1(VALU_DEP_2)
	v_mad_co_u64_u32 v[29:30], null, 0xfc2757d1, v22, v[0:1]
	v_add_nc_u32_e32 v21, v27, v21
	s_delay_alu instid0(VALU_DEP_1) | instskip(NEXT) | instid1(VALU_DEP_3)
	v_cmp_lt_u32_e64 s4, 31, v21
	v_mov_b32_e32 v0, v30
	s_delay_alu instid0(VALU_DEP_1) | instskip(NEXT) | instid1(VALU_DEP_1)
	v_mad_co_u64_u32 v[30:31], null, 0x4e441529, v22, v[0:1]
	v_dual_mov_b32 v0, v31 :: v_dual_cndmask_b32 v27, v30, v26
	s_delay_alu instid0(VALU_DEP_1) | instskip(SKIP_2) | instid1(VALU_DEP_1)
	v_mad_co_u64_u32 v[31:32], null, 0xa2f9836e, v22, v[0:1]
	s_wait_alu 0xf1ff
	v_cndmask_b32_e64 v0, 0, 0xffffffe0, s4
	v_add_nc_u32_e32 v0, v0, v21
	s_delay_alu instid0(VALU_DEP_3) | instskip(SKIP_2) | instid1(VALU_DEP_4)
	v_dual_cndmask_b32 v31, v31, v29 :: v_dual_cndmask_b32 v30, v32, v30
	v_cndmask_b32_e32 v29, v29, v25, vcc_lo
	v_cndmask_b32_e32 v21, v26, v24, vcc_lo
	v_cmp_eq_u32_e32 vcc_lo, 0, v0
	s_delay_alu instid0(VALU_DEP_4)
	v_cndmask_b32_e64 v24, v31, v27, s3
	v_cndmask_b32_e64 v26, v30, v31, s3
	;; [unrolled: 1-line block ×3, first 2 shown]
	v_sub_nc_u32_e32 v30, 32, v0
	v_cndmask_b32_e64 v29, v29, v21, s3
	v_cndmask_b32_e64 v20, v21, v20, s3
	;; [unrolled: 1-line block ×4, first 2 shown]
	s_delay_alu instid0(VALU_DEP_4) | instskip(NEXT) | instid1(VALU_DEP_4)
	v_cndmask_b32_e64 v27, v27, v29, s4
	v_cndmask_b32_e64 v20, v29, v20, s4
	s_delay_alu instid0(VALU_DEP_3) | instskip(NEXT) | instid1(VALU_DEP_3)
	v_alignbit_b32 v31, v26, v24, v30
	v_alignbit_b32 v25, v24, v27, v30
	s_delay_alu instid0(VALU_DEP_3) | instskip(SKIP_1) | instid1(VALU_DEP_2)
	v_alignbit_b32 v29, v27, v20, v30
	s_wait_alu 0xfffd
	v_dual_cndmask_b32 v0, v31, v26 :: v_dual_cndmask_b32 v21, v25, v24
	s_delay_alu instid0(VALU_DEP_2) | instskip(NEXT) | instid1(VALU_DEP_2)
	v_cndmask_b32_e32 v27, v29, v27, vcc_lo
	v_bfe_u32 v24, v0, 29, 1
	s_delay_alu instid0(VALU_DEP_3) | instskip(NEXT) | instid1(VALU_DEP_3)
	v_alignbit_b32 v25, v0, v21, 30
	v_alignbit_b32 v21, v21, v27, 30
	;; [unrolled: 1-line block ×3, first 2 shown]
	s_delay_alu instid0(VALU_DEP_4) | instskip(NEXT) | instid1(VALU_DEP_1)
	v_sub_nc_u32_e32 v26, 0, v24
	v_xor_b32_e32 v25, v25, v26
	s_delay_alu instid0(VALU_DEP_4) | instskip(NEXT) | instid1(VALU_DEP_4)
	v_xor_b32_e32 v21, v21, v26
	v_xor_b32_e32 v20, v20, v26
	v_lshrrev_b32_e32 v26, 29, v0
	s_delay_alu instid0(VALU_DEP_4) | instskip(NEXT) | instid1(VALU_DEP_1)
	v_clz_i32_u32_e32 v29, v25
	v_min_u32_e32 v29, 32, v29
	s_delay_alu instid0(VALU_DEP_1) | instskip(SKIP_1) | instid1(VALU_DEP_2)
	v_sub_nc_u32_e32 v27, 31, v29
	v_lshlrev_b32_e32 v30, 23, v29
	v_alignbit_b32 v25, v25, v21, v27
	v_alignbit_b32 v20, v21, v20, v27
	v_lshlrev_b32_e32 v21, 31, v26
	s_delay_alu instid0(VALU_DEP_2) | instskip(NEXT) | instid1(VALU_DEP_2)
	v_alignbit_b32 v26, v25, v20, 9
	v_or_b32_e32 v27, 0.5, v21
	v_lshrrev_b32_e32 v25, 9, v25
	v_or_b32_e32 v21, 0x33000000, v21
	s_delay_alu instid0(VALU_DEP_4) | instskip(NEXT) | instid1(VALU_DEP_4)
	v_clz_i32_u32_e32 v31, v26
	v_sub_nc_u32_e32 v27, v27, v30
	s_delay_alu instid0(VALU_DEP_2) | instskip(NEXT) | instid1(VALU_DEP_2)
	v_min_u32_e32 v30, 32, v31
	v_or_b32_e32 v25, v25, v27
	s_delay_alu instid0(VALU_DEP_2) | instskip(NEXT) | instid1(VALU_DEP_2)
	v_not_b32_e32 v27, v30
	v_mul_f32_e32 v31, 0x3fc90fda, v25
	v_add_lshl_u32 v29, v30, v29, 23
	v_lshrrev_b32_e32 v0, 30, v0
	s_delay_alu instid0(VALU_DEP_4) | instskip(NEXT) | instid1(VALU_DEP_4)
	v_alignbit_b32 v20, v26, v20, v27
	v_fma_f32 v26, 0x3fc90fda, v25, -v31
	s_delay_alu instid0(VALU_DEP_4) | instskip(NEXT) | instid1(VALU_DEP_3)
	v_sub_nc_u32_e32 v21, v21, v29
	v_lshrrev_b32_e32 v20, 9, v20
	s_delay_alu instid0(VALU_DEP_3) | instskip(NEXT) | instid1(VALU_DEP_2)
	v_fmac_f32_e32 v26, 0x33a22168, v25
	v_or_b32_e32 v20, v21, v20
	v_add_nc_u32_e32 v21, v24, v0
	s_delay_alu instid0(VALU_DEP_2) | instskip(NEXT) | instid1(VALU_DEP_1)
	v_fmac_f32_e32 v26, 0x3fc90fda, v20
	v_add_f32_e32 v20, v31, v26
.LBB1_19:                               ;   in Loop: Header=BB1_1 Depth=1
	s_or_saveexec_b32 s3, s33
	v_mul_f32_e64 v0, 0x3f22f983, |v17|
	s_delay_alu instid0(VALU_DEP_1)
	v_rndne_f32_e32 v25, v0
	s_wait_alu 0xfffe
	s_xor_b32 exec_lo, exec_lo, s3
; %bb.20:                               ;   in Loop: Header=BB1_1 Depth=1
	s_delay_alu instid0(VALU_DEP_1) | instskip(SKIP_1) | instid1(VALU_DEP_2)
	v_fma_f32 v20, 0xbfc90fda, v25, |v17|
	v_cvt_i32_f32_e32 v21, v25
	v_fmac_f32_e32 v20, 0xb3a22168, v25
	s_delay_alu instid0(VALU_DEP_1)
	v_fmac_f32_e32 v20, 0xa7c234c4, v25
; %bb.21:                               ;   in Loop: Header=BB1_1 Depth=1
	s_or_b32 exec_lo, exec_lo, s3
                                        ; implicit-def: $vgpr24
                                        ; implicit-def: $vgpr0
	s_and_saveexec_b32 s3, s31
	s_wait_alu 0xfffe
	s_xor_b32 s31, exec_lo, s3
	s_cbranch_execz .LBB1_23
; %bb.22:                               ;   in Loop: Header=BB1_1 Depth=1
	v_mad_co_u64_u32 v[24:25], null, 0xfe5163ab, v22, 0
	v_cmp_lt_u32_e32 vcc_lo, 63, v23
	s_delay_alu instid0(VALU_DEP_2) | instskip(NEXT) | instid1(VALU_DEP_1)
	v_mov_b32_e32 v0, v25
	v_mad_co_u64_u32 v[25:26], null, 0x3c439041, v22, v[0:1]
	s_delay_alu instid0(VALU_DEP_1) | instskip(NEXT) | instid1(VALU_DEP_1)
	v_mov_b32_e32 v0, v26
	v_mad_co_u64_u32 v[26:27], null, 0xdb629599, v22, v[0:1]
	s_delay_alu instid0(VALU_DEP_1) | instskip(SKIP_2) | instid1(VALU_DEP_3)
	v_mov_b32_e32 v0, v27
	s_wait_alu 0xfffd
	v_cndmask_b32_e64 v27, 0, 0xffffffc0, vcc_lo
	v_cndmask_b32_e32 v24, v26, v24, vcc_lo
	s_delay_alu instid0(VALU_DEP_3) | instskip(NEXT) | instid1(VALU_DEP_3)
	v_mad_co_u64_u32 v[29:30], null, 0xf534ddc0, v22, v[0:1]
	v_add_nc_u32_e32 v23, v27, v23
	s_delay_alu instid0(VALU_DEP_1) | instskip(NEXT) | instid1(VALU_DEP_3)
	v_cmp_lt_u32_e64 s3, 31, v23
	v_dual_mov_b32 v0, v30 :: v_dual_cndmask_b32 v25, v29, v25
	s_wait_alu 0xf1ff
	s_delay_alu instid0(VALU_DEP_2) | instskip(NEXT) | instid1(VALU_DEP_2)
	v_cndmask_b32_e64 v27, 0, 0xffffffe0, s3
	v_mad_co_u64_u32 v[30:31], null, 0xfc2757d1, v22, v[0:1]
	s_delay_alu instid0(VALU_DEP_2) | instskip(NEXT) | instid1(VALU_DEP_2)
	v_add_nc_u32_e32 v27, v27, v23
	v_mov_b32_e32 v0, v31
	s_delay_alu instid0(VALU_DEP_2) | instskip(NEXT) | instid1(VALU_DEP_2)
	v_cmp_lt_u32_e64 s4, 31, v27
	v_mad_co_u64_u32 v[31:32], null, 0x4e441529, v22, v[0:1]
	s_delay_alu instid0(VALU_DEP_1) | instskip(NEXT) | instid1(VALU_DEP_2)
	v_mov_b32_e32 v0, v32
	v_cndmask_b32_e32 v32, v31, v29, vcc_lo
	s_delay_alu instid0(VALU_DEP_2) | instskip(SKIP_2) | instid1(VALU_DEP_1)
	v_mad_co_u64_u32 v[22:23], null, 0xa2f9836e, v22, v[0:1]
	s_wait_alu 0xf1ff
	v_cndmask_b32_e64 v0, 0, 0xffffffe0, s4
	v_add_nc_u32_e32 v0, v0, v27
	s_delay_alu instid0(VALU_DEP_3) | instskip(SKIP_1) | instid1(VALU_DEP_3)
	v_dual_cndmask_b32 v22, v22, v30 :: v_dual_cndmask_b32 v23, v23, v31
	v_cndmask_b32_e32 v30, v30, v26, vcc_lo
	v_sub_nc_u32_e32 v29, 32, v0
	s_delay_alu instid0(VALU_DEP_3) | instskip(NEXT) | instid1(VALU_DEP_4)
	v_cndmask_b32_e64 v27, v22, v32, s3
	v_cndmask_b32_e64 v22, v23, v22, s3
	s_delay_alu instid0(VALU_DEP_4) | instskip(SKIP_2) | instid1(VALU_DEP_4)
	v_cndmask_b32_e64 v23, v32, v30, s3
	v_cndmask_b32_e64 v30, v30, v25, s3
	v_cmp_eq_u32_e32 vcc_lo, 0, v0
	v_cndmask_b32_e64 v22, v22, v27, s4
	s_delay_alu instid0(VALU_DEP_4) | instskip(NEXT) | instid1(VALU_DEP_4)
	v_cndmask_b32_e64 v27, v27, v23, s4
	v_cndmask_b32_e64 v23, v23, v30, s4
	s_delay_alu instid0(VALU_DEP_2) | instskip(NEXT) | instid1(VALU_DEP_2)
	v_alignbit_b32 v31, v22, v27, v29
	v_alignbit_b32 v26, v27, v23, v29
	s_wait_alu 0xfffd
	s_delay_alu instid0(VALU_DEP_2) | instskip(SKIP_1) | instid1(VALU_DEP_3)
	v_cndmask_b32_e32 v0, v31, v22, vcc_lo
	v_cndmask_b32_e64 v22, v25, v24, s3
	v_cndmask_b32_e32 v24, v26, v27, vcc_lo
	s_delay_alu instid0(VALU_DEP_3) | instskip(NEXT) | instid1(VALU_DEP_3)
	v_bfe_u32 v25, v0, 29, 1
	v_cndmask_b32_e64 v22, v30, v22, s4
	s_delay_alu instid0(VALU_DEP_3) | instskip(NEXT) | instid1(VALU_DEP_3)
	v_alignbit_b32 v26, v0, v24, 30
	v_sub_nc_u32_e32 v27, 0, v25
	s_delay_alu instid0(VALU_DEP_3) | instskip(NEXT) | instid1(VALU_DEP_2)
	v_alignbit_b32 v29, v23, v22, v29
	v_xor_b32_e32 v26, v26, v27
	s_delay_alu instid0(VALU_DEP_2) | instskip(NEXT) | instid1(VALU_DEP_2)
	v_cndmask_b32_e32 v23, v29, v23, vcc_lo
	v_clz_i32_u32_e32 v29, v26
	s_delay_alu instid0(VALU_DEP_2) | instskip(SKIP_1) | instid1(VALU_DEP_3)
	v_alignbit_b32 v24, v24, v23, 30
	v_alignbit_b32 v22, v23, v22, 30
	v_min_u32_e32 v29, 32, v29
	s_delay_alu instid0(VALU_DEP_3) | instskip(NEXT) | instid1(VALU_DEP_3)
	v_xor_b32_e32 v23, v24, v27
	v_xor_b32_e32 v22, v22, v27
	v_lshrrev_b32_e32 v27, 29, v0
	s_delay_alu instid0(VALU_DEP_4) | instskip(SKIP_1) | instid1(VALU_DEP_2)
	v_sub_nc_u32_e32 v24, 31, v29
	v_lshlrev_b32_e32 v30, 23, v29
	v_alignbit_b32 v26, v26, v23, v24
	v_alignbit_b32 v22, v23, v22, v24
	v_lshlrev_b32_e32 v23, 31, v27
	s_delay_alu instid0(VALU_DEP_2) | instskip(NEXT) | instid1(VALU_DEP_2)
	v_alignbit_b32 v24, v26, v22, 9
	v_or_b32_e32 v27, 0.5, v23
	v_lshrrev_b32_e32 v26, 9, v26
	v_or_b32_e32 v23, 0x33000000, v23
	s_delay_alu instid0(VALU_DEP_4) | instskip(NEXT) | instid1(VALU_DEP_4)
	v_clz_i32_u32_e32 v31, v24
	v_sub_nc_u32_e32 v27, v27, v30
	s_delay_alu instid0(VALU_DEP_2) | instskip(NEXT) | instid1(VALU_DEP_2)
	v_min_u32_e32 v30, 32, v31
	v_or_b32_e32 v26, v26, v27
	s_delay_alu instid0(VALU_DEP_2) | instskip(NEXT) | instid1(VALU_DEP_2)
	v_not_b32_e32 v27, v30
	v_mul_f32_e32 v31, 0x3fc90fda, v26
	v_add_lshl_u32 v29, v30, v29, 23
	s_delay_alu instid0(VALU_DEP_3) | instskip(NEXT) | instid1(VALU_DEP_3)
	v_alignbit_b32 v22, v24, v22, v27
	v_fma_f32 v24, 0x3fc90fda, v26, -v31
	s_delay_alu instid0(VALU_DEP_3) | instskip(NEXT) | instid1(VALU_DEP_3)
	v_sub_nc_u32_e32 v23, v23, v29
	v_lshrrev_b32_e32 v22, 9, v22
	s_delay_alu instid0(VALU_DEP_3) | instskip(NEXT) | instid1(VALU_DEP_2)
	v_fmac_f32_e32 v24, 0x33a22168, v26
	v_or_b32_e32 v22, v23, v22
	s_delay_alu instid0(VALU_DEP_1) | instskip(SKIP_1) | instid1(VALU_DEP_2)
	v_fmac_f32_e32 v24, 0x3fc90fda, v22
	v_lshrrev_b32_e32 v22, 30, v0
	v_add_f32_e32 v0, v31, v24
	s_delay_alu instid0(VALU_DEP_2)
	v_add_nc_u32_e32 v24, v25, v22
                                        ; implicit-def: $vgpr25
	s_and_not1_saveexec_b32 s3, s31
	s_cbranch_execnz .LBB1_24
	s_branch .LBB1_25
.LBB1_23:                               ;   in Loop: Header=BB1_1 Depth=1
	s_and_not1_saveexec_b32 s3, s31
.LBB1_24:                               ;   in Loop: Header=BB1_1 Depth=1
	v_fma_f32 v0, 0xbfc90fda, v25, |v17|
	v_cvt_i32_f32_e32 v24, v25
	s_delay_alu instid0(VALU_DEP_2) | instskip(NEXT) | instid1(VALU_DEP_1)
	v_fmac_f32_e32 v0, 0xb3a22168, v25
	v_fmac_f32_e32 v0, 0xa7c234c4, v25
.LBB1_25:                               ;   in Loop: Header=BB1_1 Depth=1
	s_wait_alu 0xfffe
	s_or_b32 exec_lo, exec_lo, s3
	v_add_co_u32 v22, vcc_lo, s18, v2
	s_wait_alu 0xfffd
	v_add_co_ci_u32_e64 v23, null, s19, v3, vcc_lo
	v_add_co_u32 v25, vcc_lo, s20, v2
	s_wait_alu 0xfffd
	v_add_co_ci_u32_e64 v26, null, s21, v3, vcc_lo
	;; [unrolled: 3-line block ×3, first 2 shown]
	global_load_b32 v22, v[22:23], off
	global_load_b32 v26, v[25:26], off
	;; [unrolled: 1-line block ×3, first 2 shown]
	v_dual_mul_f32 v2, v20, v20 :: v_dual_and_b32 v3, 1, v21
	v_dual_mul_f32 v33, v8, v8 :: v_dual_and_b32 v34, 1, v9
	s_delay_alu instid0(VALU_DEP_2) | instskip(SKIP_1) | instid1(VALU_DEP_3)
	v_dual_fmaak_f32 v38, s28, v2, 0xbab64f3b :: v_dual_and_b32 v29, 1, v15
	v_dual_fmaak_f32 v37, s27, v2, 0x3c0881c4 :: v_dual_and_b32 v36, 1, v24
	v_fmaak_f32 v45, s27, v33, 0x3c0881c4
	v_mul_f32_e32 v23, v16, v16
	v_mul_f32_e32 v27, v14, v14
	v_and_b32_e32 v31, 1, v12
	v_dual_fmaak_f32 v37, v2, v37, 0xbe2aaa9d :: v_dual_lshlrev_b32 v12, 30, v12
	v_fmaak_f32 v45, v33, v45, 0xbe2aaa9d
	v_fmaak_f32 v38, v2, v38, 0x3d2aabf7
	v_and_b32_e32 v25, 1, v18
	v_lshlrev_b32_e32 v18, 30, v18
	v_dual_fmaak_f32 v39, s27, v23, 0x3c0881c4 :: v_dual_lshlrev_b32 v24, 30, v24
	v_dual_mul_f32 v37, v2, v37 :: v_dual_and_b32 v12, 0x80000000, v12
	v_dual_mul_f32 v45, v33, v45 :: v_dual_fmaak_f32 v38, v2, v38, 0xbf000004
	v_dual_mul_f32 v30, v10, v10 :: v_dual_lshlrev_b32 v21, 30, v21
	s_delay_alu instid0(VALU_DEP_3) | instskip(NEXT) | instid1(VALU_DEP_3)
	v_dual_fmaak_f32 v41, s27, v27, 0x3c0881c4 :: v_dual_fmac_f32 v20, v20, v37
	v_fma_f32 v2, v2, v38, 1.0
	v_cmp_eq_u32_e32 vcc_lo, 0, v3
	v_fmaak_f32 v39, v23, v39, 0xbe2aaa9d
	v_xor_b32_e32 v19, v19, v17
	v_fmaak_f32 v40, s28, v23, 0xbab64f3b
	v_dual_fmaak_f32 v43, s27, v30, 0x3c0881c4 :: v_dual_fmac_f32 v8, v8, v45
	s_wait_alu 0xfffd
	v_cndmask_b32_e32 v2, v2, v20, vcc_lo
	v_dual_fmaak_f32 v46, s28, v33, 0xbab64f3b :: v_dual_mul_f32 v39, v23, v39
	v_and_b32_e32 v21, 0x80000000, v21
	v_cmp_class_f32_e64 s4, v17, 0x1f8
	v_dual_mul_f32 v35, v0, v0 :: v_dual_and_b32 v18, 0x80000000, v18
	s_delay_alu instid0(VALU_DEP_4)
	v_fmaak_f32 v46, v33, v46, 0x3d2aabf7
	v_fmac_f32_e32 v16, v16, v39
	v_xor3_b32 v2, v19, v21, v2
	v_fmaak_f32 v42, s28, v27, 0xbab64f3b
	v_dual_fmaak_f32 v44, s28, v30, 0xbab64f3b :: v_dual_lshlrev_b32 v15, 30, v15
	v_fmaak_f32 v46, v33, v46, 0xbf000004
	s_wait_alu 0xf1ff
	v_cndmask_b32_e64 v2, 0x7fc00000, v2, s4
	v_fmaak_f32 v43, v30, v43, 0xbe2aaa9d
	v_fmaak_f32 v40, v23, v40, 0x3d2aabf7
	;; [unrolled: 1-line block ×4, first 2 shown]
	v_fma_f32 v33, v33, v46, 1.0
	v_fmaak_f32 v41, v27, v41, 0xbe2aaa9d
	v_dual_mul_f32 v43, v30, v43 :: v_dual_fmaak_f32 v40, v23, v40, 0xbf000004
	v_and_b32_e32 v24, 0x80000000, v24
	v_fmaak_f32 v47, v35, v47, 0xbe2aaa9d
	s_delay_alu instid0(VALU_DEP_4) | instskip(SKIP_3) | instid1(VALU_DEP_4)
	v_dual_fmaak_f32 v44, v30, v44, 0x3d2aabf7 :: v_dual_mul_f32 v41, v27, v41
	v_fmaak_f32 v42, v27, v42, 0xbf000004
	v_fma_f32 v23, v23, v40, 1.0
	v_cmp_eq_u32_e32 vcc_lo, 0, v25
	v_dual_fmac_f32 v14, v14, v41 :: v_dual_and_b32 v15, 0x80000000, v15
	v_dual_mul_f32 v47, v35, v47 :: v_dual_fmaak_f32 v44, v30, v44, 0xbf000004
	v_fma_f32 v27, v27, v42, 1.0
	s_wait_alu 0xfffd
	v_cndmask_b32_e64 v3, -v16, v23, vcc_lo
	v_cmp_eq_u32_e32 vcc_lo, 0, v29
	v_fmac_f32_e32 v10, v10, v43
	v_fma_f32 v30, v30, v44, 1.0
	v_dual_fmaak_f32 v48, s28, v35, 0xbab64f3b :: v_dual_lshlrev_b32 v9, 30, v9
	s_wait_alu 0xfffd
	v_cndmask_b32_e32 v14, v27, v14, vcc_lo
	v_cmp_eq_u32_e32 vcc_lo, 0, v31
	v_xor_b32_e32 v7, v7, v6
	v_dual_fmac_f32 v0, v0, v47 :: v_dual_and_b32 v9, 0x80000000, v9
	v_cmp_class_f32_e64 s3, v6, 0x1f8
	s_wait_alu 0xfffd
	v_cndmask_b32_e64 v10, -v10, v30, vcc_lo
	v_cmp_eq_u32_e32 vcc_lo, 0, v34
	v_xor_b32_e32 v13, v13, v11
	v_xor_b32_e32 v3, v18, v3
	s_xor_b32 s31, s30, -1
	v_xor_b32_e32 v10, v12, v10
	s_wait_alu 0xfffd
	v_cndmask_b32_e32 v8, v33, v8, vcc_lo
	v_cmp_eq_u32_e32 vcc_lo, 0, v36
	s_cmp_lg_u32 s29, 0
	s_mov_b32 s30, 0
	s_cselect_b32 s5, s5, 0
	v_xor3_b32 v6, v7, v9, v8
	v_cndmask_b32_e64 v8, 0x7fc00000, v10, s3
	v_fmaak_f32 v48, v35, v48, 0x3d2aabf7
	s_cmp_lg_u32 s29, 1
	s_delay_alu instid0(VALU_DEP_3) | instskip(SKIP_1) | instid1(VALU_DEP_2)
	v_cndmask_b32_e64 v6, 0x7fc00000, v6, s3
	s_cselect_b32 s6, s6, 0
	v_fmaak_f32 v48, v35, v48, 0xbf000004
	s_delay_alu instid0(VALU_DEP_1) | instskip(SKIP_1) | instid1(VALU_DEP_1)
	v_fma_f32 v35, v35, v48, 1.0
	s_wait_alu 0xfffd
	v_cndmask_b32_e64 v0, -v0, v35, vcc_lo
	v_cmp_class_f32_e64 vcc_lo, v11, 0x1f8
	v_xor3_b32 v11, v13, v15, v14
	s_delay_alu instid0(VALU_DEP_3) | instskip(SKIP_2) | instid1(VALU_DEP_3)
	v_xor_b32_e32 v0, v24, v0
	s_wait_alu 0xfffd
	v_cndmask_b32_e32 v3, 0x7fc00000, v3, vcc_lo
	v_cndmask_b32_e32 v7, 0x7fc00000, v11, vcc_lo
	v_mul_f32_e32 v11, v8, v2
	s_and_not1_b32 vcc_lo, exec_lo, s31
	v_cndmask_b32_e64 v0, 0x7fc00000, v0, s4
	s_delay_alu instid0(VALU_DEP_3) | instskip(SKIP_2) | instid1(VALU_DEP_4)
	v_dual_mul_f32 v23, v3, v2 :: v_dual_mul_f32 v10, v8, v7
	v_mul_f32_e32 v9, v6, v7
	v_xor_b32_e32 v29, 0x80000000, v7
	v_mul_f32_e32 v24, v8, v0
	v_mul_f32_e32 v12, v6, v0
	;; [unrolled: 1-line block ×4, first 2 shown]
	v_fma_f32 v20, v9, v0, -v11
	v_fmac_f32_e32 v24, v9, v2
	v_fma_f32 v25, v10, v2, -v12
	v_fmac_f32_e32 v21, v6, v2
	v_mul_f32_e32 v30, v6, v3
	v_mul_f32_e32 v31, v8, v3
	s_wait_loadcnt 0x2
	scratch_store_b128 off, v[19:22], s25
	s_wait_loadcnt 0x1
	scratch_store_b128 off, v[23:26], s25 offset:16
	s_wait_loadcnt 0x0
	scratch_store_b128 off, v[29:32], s25 offset:32
	s_wait_alu 0xfffe
	s_cbranch_vccz .LBB1_27
; %bb.26:                               ;   in Loop: Header=BB1_1 Depth=1
	s_mov_b32 s25, s7
	s_mov_b32 s29, 1
	s_branch .LBB1_1
.LBB1_27:
	s_clause 0x5
	scratch_load_b128 v[0:3], off, off
	scratch_load_b128 v[4:7], off, off offset:16
	scratch_load_b128 v[8:11], off, off offset:32
	;; [unrolled: 1-line block ×5, first 2 shown]
	s_clause 0x1
	s_load_b64 s[16:17], s[0:1], 0x0
	s_load_b128 s[12:15], s[0:1], 0x48
	v_dual_mov_b32 v30, s5 :: v_dual_mov_b32 v31, s6
	v_mov_b32_e32 v29, 0
	s_mov_b32 s7, 0
	s_add_nc_u64 s[8:9], s[8:9], 8
	s_wait_alu 0xfffe
	s_mov_b32 s6, s7
	s_wait_kmcnt 0x0
	s_max_i32 s18, s17, 1
	s_max_i32 s19, s16, 1
.LBB1_28:                               ; =>This Loop Header: Depth=1
                                        ;     Child Loop BB1_29 Depth 2
	s_wait_alu 0xfffe
	s_lshl_b64 s[0:1], s[6:7], 4
	s_mov_b32 s20, s18
	s_wait_alu 0xfffe
	s_add_nc_u64 s[0:1], s[10:11], s[0:1]
	s_mov_b64 s[16:17], s[8:9]
	global_load_b128 v[37:40], v29, s[0:1]
	s_wait_loadcnt 0x0
	v_ashrrev_i32_e32 v25, 31, v40
	v_fma_f32 v33, v37, v4, v7
	v_mov_b32_e32 v24, v40
	v_fma_f32 v32, v37, v0, v3
	v_fma_f32 v34, v37, v8, v11
	;; [unrolled: 1-line block ×3, first 2 shown]
	v_fmac_f32_e32 v33, v38, v5
	v_lshlrev_b64_e32 v[24:25], 4, v[24:25]
	v_fmac_f32_e32 v32, v38, v1
	v_fma_f32 v36, v37, v16, v19
	v_fma_f32 v37, v37, v20, v23
	v_fmac_f32_e32 v33, v39, v6
	s_delay_alu instid0(VALU_DEP_4) | instskip(SKIP_3) | instid1(VALU_DEP_3)
	v_dual_fmac_f32 v35, v38, v13 :: v_dual_fmac_f32 v32, v39, v2
	v_add_co_u32 v24, vcc_lo, s14, v24
	s_wait_alu 0xfffd
	v_add_co_ci_u32_e64 v25, null, s15, v25, vcc_lo
	v_dual_fmac_f32 v34, v38, v9 :: v_dual_fmac_f32 v35, v39, v14
	v_fmac_f32_e32 v37, v38, v21
	global_load_b128 v[24:27], v[24:25], off
	v_fmac_f32_e32 v34, v39, v10
	v_dual_fmac_f32 v36, v38, v17 :: v_dual_fmac_f32 v37, v39, v22
	s_delay_alu instid0(VALU_DEP_1)
	v_fmac_f32_e32 v36, v39, v18
	s_wait_loadcnt 0x0
	v_readfirstlane_b32 s21, v26
	v_readfirstlane_b32 s0, v24
	s_cmp_gt_f32 s21, 0
	s_cselect_b32 s22, -1, 0
	s_wait_alu 0xfffe
	s_cmp_eq_u32 s0, 0x46
	s_cselect_b32 s23, -1, 0
	s_cmp_eq_u32 s0, 0x45
	s_cselect_b32 s25, -1, 0
	s_cmp_lt_f32 s21, 0
	s_cselect_b32 s26, -1, 0
	s_wait_alu 0xfffe
	s_and_b32 s0, s26, exec_lo
	s_cselect_b32 s27, 0x40b00000, 1.0
	s_cselect_b32 s28, 1.0, 0xff7fffff
	s_xor_b32 s29, s21, 0x80000000
.LBB1_29:                               ;   Parent Loop BB1_28 Depth=1
                                        ; =>  This Inner Loop Header: Depth=2
	global_load_b128 v[38:41], v29, s[16:17] offset:-8
	s_add_nc_u64 s[16:17], s[16:17], 16
	s_wait_loadcnt 0x0
	v_ashrrev_i32_e32 v42, 31, v41
	v_dual_sub_f32 v24, v32, v38 :: v_dual_sub_f32 v45, v34, v40
	v_sub_f32_e32 v38, v35, v38
	v_sub_f32_e32 v26, v33, v39
	s_delay_alu instid0(VALU_DEP_4) | instskip(SKIP_1) | instid1(VALU_DEP_1)
	v_lshlrev_b64_e32 v[41:42], 4, v[41:42]
	v_dual_sub_f32 v39, v36, v39 :: v_dual_sub_f32 v40, v37, v40
	v_mul_f32_e32 v39, v39, v39
	s_delay_alu instid0(VALU_DEP_3) | instskip(SKIP_1) | instid1(VALU_DEP_4)
	v_add_co_u32 v41, vcc_lo, s14, v41
	s_wait_alu 0xfffd
	v_add_co_ci_u32_e64 v42, null, s15, v42, vcc_lo
	s_delay_alu instid0(VALU_DEP_3) | instskip(SKIP_4) | instid1(VALU_DEP_2)
	v_fmac_f32_e32 v39, v38, v38
	v_mul_f32_e32 v26, v26, v26
	global_load_b128 v[41:44], v[41:42], off
	v_fmac_f32_e32 v39, v40, v40
	v_fmac_f32_e32 v26, v24, v24
	v_cmp_gt_f32_e32 vcc_lo, 0xf800000, v39
	s_delay_alu instid0(VALU_DEP_2) | instskip(SKIP_1) | instid1(VALU_DEP_2)
	v_fmac_f32_e32 v26, v45, v45
	v_mul_f32_e32 v38, 0x4f800000, v39
	v_mul_f32_e32 v24, 0x4f800000, v26
	v_cmp_gt_f32_e64 s0, 0xf800000, v26
	s_wait_alu 0xf1fe
	s_delay_alu instid0(VALU_DEP_1) | instskip(SKIP_2) | instid1(VALU_DEP_2)
	v_cndmask_b32_e64 v24, v26, v24, s0
	s_wait_alu 0xfffd
	v_cndmask_b32_e32 v26, v39, v38, vcc_lo
	v_sqrt_f32_e32 v38, v24
	s_delay_alu instid0(VALU_DEP_1) | instskip(NEXT) | instid1(TRANS32_DEP_2)
	v_sqrt_f32_e32 v39, v26
	v_add_nc_u32_e32 v40, -1, v38
	s_delay_alu instid0(TRANS32_DEP_1) | instskip(SKIP_2) | instid1(VALU_DEP_4)
	v_add_nc_u32_e32 v45, -1, v39
	v_add_nc_u32_e32 v46, 1, v38
	v_add_nc_u32_e32 v47, 1, v39
	v_fma_f32 v48, -v40, v38, v24
	s_delay_alu instid0(VALU_DEP_4) | instskip(NEXT) | instid1(VALU_DEP_4)
	v_fma_f32 v49, -v45, v39, v26
	v_fma_f32 v50, -v46, v38, v24
	s_delay_alu instid0(VALU_DEP_4) | instskip(NEXT) | instid1(VALU_DEP_4)
	v_fma_f32 v51, -v47, v39, v26
	v_cmp_ge_f32_e64 s1, 0, v48
	s_delay_alu instid0(VALU_DEP_3) | instskip(SKIP_1) | instid1(VALU_DEP_2)
	v_cmp_lt_f32_e64 s3, 0, v50
	s_wait_alu 0xf1ff
	v_cndmask_b32_e64 v38, v38, v40, s1
	v_cmp_ge_f32_e64 s1, 0, v49
	s_delay_alu instid0(VALU_DEP_2) | instskip(SKIP_1) | instid1(VALU_DEP_2)
	v_cndmask_b32_e64 v38, v38, v46, s3
	s_wait_alu 0xf1ff
	v_cndmask_b32_e64 v39, v39, v45, s1
	v_cmp_lt_f32_e64 s1, 0, v51
	s_wait_alu 0xf1ff
	s_delay_alu instid0(VALU_DEP_1) | instskip(NEXT) | instid1(VALU_DEP_1)
	v_cndmask_b32_e64 v39, v39, v47, s1
	v_mul_f32_e32 v45, 0x37800000, v39
	s_delay_alu instid0(VALU_DEP_1) | instskip(SKIP_2) | instid1(VALU_DEP_2)
	v_cndmask_b32_e32 v39, v39, v45, vcc_lo
	v_cmp_class_f32_e64 vcc_lo, v26, 0x260
	s_wait_alu 0xfffd
	v_cndmask_b32_e32 v26, v39, v26, vcc_lo
	s_wait_loadcnt 0x0
	v_dual_mul_f32 v39, v27, v44 :: v_dual_mul_f32 v40, 0x37800000, v38
	v_readfirstlane_b32 s3, v41
	v_readfirstlane_b32 s30, v43
	s_delay_alu instid0(VALU_DEP_3)
	v_cndmask_b32_e64 v38, v38, v40, s0
	v_cmp_class_f32_e64 s0, v24, 0x260
	s_cmp_eq_u32 s3, 0x46
	v_cndmask_b32_e64 v24, v38, v24, s0
	v_add_f32_e32 v38, v25, v42
	s_cselect_b32 s0, -1, 0
	s_wait_alu 0xfffe
	s_and_b32 s4, s0, s23
	s_delay_alu instid0(VALU_DEP_1)
	v_div_scale_f32 v40, null, v38, v38, 1.0
	v_sub_f32_e32 v42, v24, v38
	s_wait_alu 0xfffe
	s_and_b32 s4, s4, exec_lo
	s_cselect_b32 s4, 4.0, 2.0
	v_xor_b32_e32 v44, 0x80000000, v40
	v_rcp_f32_e32 v40, v40
	s_cselect_b32 s5, 0x3e800000, 0.5
	s_cmp_eq_u32 s3, 0x45
	s_wait_alu 0xfffe
	v_cmp_gt_f32_e64 s3, s4, v42
	v_cmp_gt_f32_e64 s0, 0, v42
	v_fma_f32 v47, -s5, v42, 1.0
	s_cselect_b32 s31, -1, 0
	v_div_scale_f32 v41, vcc_lo, 1.0, v38, 1.0
	s_wait_alu 0xf1ff
	v_cndmask_b32_e64 v48, 0, 1.0, s3
	v_fma_f32 v51, v44, v40, 1.0
	v_sub_f32_e32 v43, v26, v38
	v_cndmask_b32_e64 v47, v47, 1.0, s0
	v_cndmask_b32_e64 v45, 0, 0x42980000, s0
	s_delay_alu instid0(VALU_DEP_4) | instskip(NEXT) | instid1(VALU_DEP_4)
	v_fmac_f32_e32 v40, v51, v40
	v_cmp_gt_f32_e64 s1, 0, v43
	v_fma_f32 v49, -s5, v43, 1.0
	v_cmp_gt_f32_e64 s3, s4, v43
	v_mul_f32_e32 v47, v48, v47
	s_wait_alu 0xf1ff
	v_cndmask_b32_e64 v46, 0, 0x42980000, s1
	v_cndmask_b32_e64 v49, v49, 1.0, s1
	v_cndmask_b32_e64 v50, 0, 1.0, s3
	s_or_b32 s3, s31, s25
	s_cmp_gt_f32 s30, 0
	s_delay_alu instid0(VALU_DEP_1) | instskip(SKIP_3) | instid1(VALU_DEP_1)
	v_dual_mul_f32 v47, v39, v47 :: v_dual_mul_f32 v48, v50, v49
	s_cselect_b32 s31, -1, 0
	s_cmp_neq_f32 s30, 0
	s_wait_alu 0xfffe
	v_cndmask_b32_e64 v47, v47, -|v47|, s3
	v_mul_f32_e32 v39, v39, v48
	s_cselect_b32 s33, -1, 0
	s_cmp_lt_f32 s30, 0
	v_mul_f32_e32 v48, v41, v40
	s_delay_alu instid0(VALU_DEP_2)
	v_cndmask_b32_e64 v39, v39, -|v39|, s3
	s_cselect_b32 s3, -1, 0
	s_wait_alu 0xfffe
	s_and_b32 s4, s3, exec_lo
	s_cselect_b32 s34, s27, s28
	v_fma_f32 v50, v44, v48, v41
	s_wait_alu 0xfffe
	v_div_scale_f32 v49, null, s34, s34, 1.0
	s_and_b32 s3, s3, s22
	s_xor_b32 s35, s30, 0x80000000
	v_fmac_f32_e32 v48, v50, v40
	v_rcp_f32_e32 v51, v49
	s_wait_alu 0xfffe
	s_and_b32 s3, s3, exec_lo
	v_div_scale_f32 v50, s3, 1.0, s34, 1.0
	v_fmac_f32_e32 v41, v44, v48
	v_xor_b32_e32 v44, 0x80000000, v49
	v_cmp_gt_f32_e64 s5, s34, v43
	s_cselect_b32 s30, s35, s30
	s_and_b32 s31, s31, s26
	s_wait_alu 0xfffd
	v_div_fmas_f32 v40, v41, v40, v48
	v_fma_f32 v49, v44, v51, 1.0
	s_wait_alu 0xfffe
	s_mov_b32 vcc_lo, s3
	s_and_b32 s31, s31, exec_lo
	s_cselect_b32 s31, s29, s21
	s_add_co_i32 s20, s20, -1
	v_fmac_f32_e32 v51, v49, v51
	v_cmp_gt_f32_e64 s4, s34, v42
	s_add_f32 s3, s30, s31
	v_mul_f32_e32 v49, v50, v51
	v_div_fixup_f32 v38, v40, v38, 1.0
	s_and_b32 s4, s33, s4
	s_delay_alu instid0(VALU_DEP_2) | instskip(NEXT) | instid1(VALU_DEP_2)
	v_fma_f32 v41, v44, v49, v50
	v_fma_f32 v26, -v38, v26, 1.0
	v_fma_f32 v24, -v38, v24, 1.0
	s_delay_alu instid0(VALU_DEP_3) | instskip(NEXT) | instid1(VALU_DEP_3)
	v_fmac_f32_e32 v49, v41, v51
	v_fmac_f32_e32 v31, v26, v46
	s_wait_alu 0xfffe
	v_cndmask_b32_e64 v41, 0, 1.0, s4
	s_and_b32 s4, s33, s5
	v_fmac_f32_e32 v30, v24, v45
	s_wait_alu 0xfffe
	v_cndmask_b32_e64 v48, 0, 1.0, s4
	v_dual_fmac_f32 v31, 0x42340000, v39 :: v_dual_fmac_f32 v50, v44, v49
	s_cmp_lg_u32 s20, 0
	v_fmac_f32_e32 v30, 0x42340000, v47
	s_delay_alu instid0(VALU_DEP_2) | instskip(NEXT) | instid1(VALU_DEP_1)
	v_div_fmas_f32 v40, v50, v51, v49
	v_div_fixup_f32 v38, v40, s34, 1.0
	v_mul_f32_e32 v40, s3, v41
	s_delay_alu instid0(VALU_DEP_2) | instskip(SKIP_2) | instid1(VALU_DEP_3)
	v_fma_f32 v24, -v38, v42, 1.0
	v_fma_f32 v26, -v38, v43, 1.0
	v_mul_f32_e32 v38, s3, v48
	v_cndmask_b32_e64 v24, v24, 1.0, s0
	s_delay_alu instid0(VALU_DEP_3) | instskip(NEXT) | instid1(VALU_DEP_1)
	v_cndmask_b32_e64 v26, v26, 1.0, s1
	v_dual_fmac_f32 v30, v24, v40 :: v_dual_fmac_f32 v31, v26, v38
	s_cbranch_scc1 .LBB1_29
; %bb.30:                               ;   in Loop: Header=BB1_28 Depth=1
	s_add_co_i32 s6, s6, 1
	s_wait_alu 0xfffe
	s_cmp_lg_u32 s6, s19
	s_cbranch_scc1 .LBB1_28
; %bb.31:
	s_and_saveexec_b32 s0, s2
	s_cbranch_execz .LBB1_33
; %bb.32:
	v_dual_mov_b32 v29, 0 :: v_dual_mul_f32 v4, 0.5, v30
	v_mul_f32_e32 v5, 0.5, v31
	s_delay_alu instid0(VALU_DEP_2) | instskip(SKIP_1) | instid1(VALU_DEP_1)
	v_lshlrev_b64_e32 v[0:1], 2, v[28:29]
	v_add_nc_u32_e32 v28, s24, v28
	v_lshlrev_b64_e32 v[2:3], 2, v[28:29]
	s_delay_alu instid0(VALU_DEP_3) | instskip(SKIP_1) | instid1(VALU_DEP_4)
	v_add_co_u32 v0, vcc_lo, s12, v0
	s_wait_alu 0xfffd
	v_add_co_ci_u32_e64 v1, null, s13, v1, vcc_lo
	s_delay_alu instid0(VALU_DEP_3)
	v_add_co_u32 v2, vcc_lo, s12, v2
	s_wait_alu 0xfffd
	v_add_co_ci_u32_e64 v3, null, s13, v3, vcc_lo
	s_clause 0x1
	global_store_b32 v[0:1], v4, off
	global_store_b32 v[2:3], v5, off
.LBB1_33:
	s_endpgm
	.section	.rodata,"a",@progbits
	.p2align	6, 0x0
	.amdhsa_kernel _ZL11fasten_mainILm2EEviiPK4AtomS2_PKfS4_S4_S4_S4_S4_PfPK8FFParamsi
		.amdhsa_group_segment_fixed_size 0
		.amdhsa_private_segment_fixed_size 112
		.amdhsa_kernarg_size 352
		.amdhsa_user_sgpr_count 2
		.amdhsa_user_sgpr_dispatch_ptr 0
		.amdhsa_user_sgpr_queue_ptr 0
		.amdhsa_user_sgpr_kernarg_segment_ptr 1
		.amdhsa_user_sgpr_dispatch_id 0
		.amdhsa_user_sgpr_private_segment_size 0
		.amdhsa_wavefront_size32 1
		.amdhsa_uses_dynamic_stack 0
		.amdhsa_enable_private_segment 1
		.amdhsa_system_sgpr_workgroup_id_x 1
		.amdhsa_system_sgpr_workgroup_id_y 0
		.amdhsa_system_sgpr_workgroup_id_z 0
		.amdhsa_system_sgpr_workgroup_info 0
		.amdhsa_system_vgpr_workitem_id 0
		.amdhsa_next_free_vgpr 52
		.amdhsa_next_free_sgpr 36
		.amdhsa_reserve_vcc 1
		.amdhsa_float_round_mode_32 0
		.amdhsa_float_round_mode_16_64 0
		.amdhsa_float_denorm_mode_32 3
		.amdhsa_float_denorm_mode_16_64 3
		.amdhsa_fp16_overflow 0
		.amdhsa_workgroup_processor_mode 1
		.amdhsa_memory_ordered 1
		.amdhsa_forward_progress 1
		.amdhsa_inst_pref_size 59
		.amdhsa_round_robin_scheduling 0
		.amdhsa_exception_fp_ieee_invalid_op 0
		.amdhsa_exception_fp_denorm_src 0
		.amdhsa_exception_fp_ieee_div_zero 0
		.amdhsa_exception_fp_ieee_overflow 0
		.amdhsa_exception_fp_ieee_underflow 0
		.amdhsa_exception_fp_ieee_inexact 0
		.amdhsa_exception_int_div_zero 0
	.end_amdhsa_kernel
	.section	.text._ZL11fasten_mainILm2EEviiPK4AtomS2_PKfS4_S4_S4_S4_S4_PfPK8FFParamsi,"axG",@progbits,_ZL11fasten_mainILm2EEviiPK4AtomS2_PKfS4_S4_S4_S4_S4_PfPK8FFParamsi,comdat
.Lfunc_end1:
	.size	_ZL11fasten_mainILm2EEviiPK4AtomS2_PKfS4_S4_S4_S4_S4_PfPK8FFParamsi, .Lfunc_end1-_ZL11fasten_mainILm2EEviiPK4AtomS2_PKfS4_S4_S4_S4_S4_PfPK8FFParamsi
                                        ; -- End function
	.set _ZL11fasten_mainILm2EEviiPK4AtomS2_PKfS4_S4_S4_S4_S4_PfPK8FFParamsi.num_vgpr, 52
	.set _ZL11fasten_mainILm2EEviiPK4AtomS2_PKfS4_S4_S4_S4_S4_PfPK8FFParamsi.num_agpr, 0
	.set _ZL11fasten_mainILm2EEviiPK4AtomS2_PKfS4_S4_S4_S4_S4_PfPK8FFParamsi.numbered_sgpr, 36
	.set _ZL11fasten_mainILm2EEviiPK4AtomS2_PKfS4_S4_S4_S4_S4_PfPK8FFParamsi.num_named_barrier, 0
	.set _ZL11fasten_mainILm2EEviiPK4AtomS2_PKfS4_S4_S4_S4_S4_PfPK8FFParamsi.private_seg_size, 112
	.set _ZL11fasten_mainILm2EEviiPK4AtomS2_PKfS4_S4_S4_S4_S4_PfPK8FFParamsi.uses_vcc, 1
	.set _ZL11fasten_mainILm2EEviiPK4AtomS2_PKfS4_S4_S4_S4_S4_PfPK8FFParamsi.uses_flat_scratch, 1
	.set _ZL11fasten_mainILm2EEviiPK4AtomS2_PKfS4_S4_S4_S4_S4_PfPK8FFParamsi.has_dyn_sized_stack, 0
	.set _ZL11fasten_mainILm2EEviiPK4AtomS2_PKfS4_S4_S4_S4_S4_PfPK8FFParamsi.has_recursion, 0
	.set _ZL11fasten_mainILm2EEviiPK4AtomS2_PKfS4_S4_S4_S4_S4_PfPK8FFParamsi.has_indirect_call, 0
	.section	.AMDGPU.csdata,"",@progbits
; Kernel info:
; codeLenInByte = 7520
; TotalNumSgprs: 38
; NumVgprs: 52
; ScratchSize: 112
; MemoryBound: 0
; FloatMode: 240
; IeeeMode: 1
; LDSByteSize: 0 bytes/workgroup (compile time only)
; SGPRBlocks: 0
; VGPRBlocks: 6
; NumSGPRsForWavesPerEU: 38
; NumVGPRsForWavesPerEU: 52
; Occupancy: 16
; WaveLimiterHint : 1
; COMPUTE_PGM_RSRC2:SCRATCH_EN: 1
; COMPUTE_PGM_RSRC2:USER_SGPR: 2
; COMPUTE_PGM_RSRC2:TRAP_HANDLER: 0
; COMPUTE_PGM_RSRC2:TGID_X_EN: 1
; COMPUTE_PGM_RSRC2:TGID_Y_EN: 0
; COMPUTE_PGM_RSRC2:TGID_Z_EN: 0
; COMPUTE_PGM_RSRC2:TIDIG_COMP_CNT: 0
	.section	.text._ZL11fasten_mainILm4EEviiPK4AtomS2_PKfS4_S4_S4_S4_S4_PfPK8FFParamsi,"axG",@progbits,_ZL11fasten_mainILm4EEviiPK4AtomS2_PKfS4_S4_S4_S4_S4_PfPK8FFParamsi,comdat
	.globl	_ZL11fasten_mainILm4EEviiPK4AtomS2_PKfS4_S4_S4_S4_S4_PfPK8FFParamsi ; -- Begin function _ZL11fasten_mainILm4EEviiPK4AtomS2_PKfS4_S4_S4_S4_S4_PfPK8FFParamsi
	.p2align	8
	.type	_ZL11fasten_mainILm4EEviiPK4AtomS2_PKfS4_S4_S4_S4_S4_PfPK8FFParamsi,@function
_ZL11fasten_mainILm4EEviiPK4AtomS2_PKfS4_S4_S4_S4_S4_PfPK8FFParamsi: ; @_ZL11fasten_mainILm4EEviiPK4AtomS2_PKfS4_S4_S4_S4_S4_PfPK8FFParamsi
; %bb.0:
	s_clause 0x2
	s_load_b32 s2, s[0:1], 0x6c
	s_load_b32 s3, s[0:1], 0x58
	s_load_b512 s[8:23], s[0:1], 0x8
	v_mov_b32_e32 v1, 0
	s_mov_b32 s28, 0
	s_mov_b64 s[6:7], 0
	s_mov_b32 s29, 0x7fffff
	s_mov_b32 s30, 0xb94c1982
	;; [unrolled: 1-line block ×7, first 2 shown]
	s_wait_kmcnt 0x0
	s_and_b32 s24, s2, 0xffff
	s_add_co_i32 s4, s3, -4
	s_mul_i32 s2, ttmp9, s24
	s_lshl_b32 s31, s24, 2
	v_lshl_add_u32 v52, s2, 2, v0
	s_delay_alu instid0(VALU_DEP_1) | instskip(SKIP_1) | instid1(VALU_DEP_1)
	v_cmp_gt_i32_e64 s2, s3, v52
	s_wait_alu 0xf1ff
	v_cndmask_b32_e64 v2, s4, v52, s2
	s_delay_alu instid0(VALU_DEP_1) | instskip(NEXT) | instid1(VALU_DEP_1)
	v_ashrrev_i32_e32 v3, 31, v2
	v_lshlrev_b64_e32 v[2:3], 2, v[2:3]
	s_branch .LBB2_2
.LBB2_1:                                ;   in Loop: Header=BB2_2 Depth=1
	s_wait_alu 0xfffe
	s_or_b32 exec_lo, exec_lo, s3
	v_add_co_u32 v20, vcc_lo, s18, v2
	s_wait_alu 0xfffd
	v_add_co_ci_u32_e64 v21, null, s19, v3, vcc_lo
	v_add_co_u32 v23, vcc_lo, s20, v2
	s_wait_alu 0xfffd
	v_add_co_ci_u32_e64 v24, null, s21, v3, vcc_lo
	;; [unrolled: 3-line block ×3, first 2 shown]
	global_load_b32 v20, v[20:21], off
	global_load_b32 v24, v[23:24], off
	;; [unrolled: 1-line block ×3, first 2 shown]
	v_dual_mul_f32 v30, v8, v8 :: v_dual_and_b32 v23, 1, v19
	v_dual_mul_f32 v32, v6, v6 :: v_dual_lshlrev_b32 v19, 30, v19
	v_mul_f32_e32 v25, v14, v14
	v_dual_mul_f32 v21, v18, v18 :: v_dual_and_b32 v26, 1, v16
	v_lshlrev_b32_e32 v16, 30, v16
	v_mul_f32_e32 v27, v12, v12
	s_delay_alu instid0(VALU_DEP_4)
	v_dual_fmaak_f32 v38, s30, v25, 0x3c0881c4 :: v_dual_and_b32 v33, 1, v7
	v_dual_fmaak_f32 v44, s30, v32, 0x3c0881c4 :: v_dual_and_b32 v35, 1, v22
	v_dual_mul_f32 v34, v0, v0 :: v_dual_and_b32 v29, 1, v13
	v_dual_fmaak_f32 v36, s30, v21, 0x3c0881c4 :: v_dual_and_b32 v31, 1, v10
	v_lshlrev_b32_e32 v10, 30, v10
	v_dual_fmaak_f32 v40, s30, v27, 0x3c0881c4 :: v_dual_lshlrev_b32 v13, 30, v13
	v_dual_fmaak_f32 v42, s30, v30, 0x3c0881c4 :: v_dual_lshlrev_b32 v7, 30, v7
	;; [unrolled: 1-line block ×3, first 2 shown]
	v_fmaak_f32 v38, v25, v38, 0xbe2aaa9d
	v_fmaak_f32 v44, v32, v44, 0xbe2aaa9d
	;; [unrolled: 1-line block ×8, first 2 shown]
	v_mul_f32_e32 v38, v25, v38
	v_dual_fmaak_f32 v37, v21, v37, 0x3d2aabf7 :: v_dual_mul_f32 v44, v32, v44
	v_dual_mul_f32 v36, v21, v36 :: v_dual_and_b32 v19, 0x80000000, v19
	s_delay_alu instid0(VALU_DEP_4)
	v_dual_mul_f32 v42, v30, v42 :: v_dual_and_b32 v13, 0x80000000, v13
	v_fmaak_f32 v46, s30, v34, 0x3c0881c4
	v_dual_fmaak_f32 v39, v25, v39, 0x3d2aabf7 :: v_dual_mul_f32 v40, v27, v40
	v_dual_fmaak_f32 v41, v27, v41, 0x3d2aabf7 :: v_dual_fmac_f32 v6, v6, v44
	v_dual_fmac_f32 v14, v14, v38 :: v_dual_fmaak_f32 v37, v21, v37, 0xbf000004
	v_dual_fmac_f32 v18, v18, v36 :: v_dual_and_b32 v7, 0x80000000, v7
	v_fmaak_f32 v46, v34, v46, 0xbe2aaa9d
	v_fmaak_f32 v45, s33, v32, 0xbab64f3b
	s_delay_alu instid0(VALU_DEP_4)
	v_fma_f32 v21, v21, v37, 1.0
	v_dual_fmac_f32 v8, v8, v42 :: v_dual_fmaak_f32 v39, v25, v39, 0xbf000004
	v_cmp_eq_u32_e32 vcc_lo, 0, v23
	v_dual_fmaak_f32 v41, v27, v41, 0xbf000004 :: v_dual_mul_f32 v46, v34, v46
	v_fmaak_f32 v43, v30, v43, 0x3d2aabf7
	s_wait_alu 0xfffd
	v_dual_fmaak_f32 v45, v32, v45, 0x3d2aabf7 :: v_dual_cndmask_b32 v18, v21, v18
	v_fma_f32 v25, v25, v39, 1.0
	v_cmp_eq_u32_e32 vcc_lo, 0, v26
	v_dual_fmaak_f32 v47, s33, v34, 0xbab64f3b :: v_dual_fmac_f32 v12, v12, v40
	v_fma_f32 v27, v27, v41, 1.0
	v_dual_fmac_f32 v0, v0, v46 :: v_dual_fmaak_f32 v43, v30, v43, 0xbf000004
	s_wait_alu 0xfffd
	v_cndmask_b32_e64 v14, -v14, v25, vcc_lo
	v_cmp_eq_u32_e32 vcc_lo, 0, v29
	v_fmaak_f32 v47, v34, v47, 0x3d2aabf7
	v_fmaak_f32 v45, v32, v45, 0xbf000004
	v_fma_f32 v30, v30, v43, 1.0
	v_xor_b32_e32 v5, v5, v4
	s_wait_alu 0xfffd
	v_cndmask_b32_e32 v12, v27, v12, vcc_lo
	v_cmp_eq_u32_e32 vcc_lo, 0, v31
	v_fma_f32 v32, v32, v45, 1.0
	v_cmp_class_f32_e64 s3, v4, 0x1f8
	v_xor_b32_e32 v11, v11, v9
	v_xor_b32_e32 v17, v17, v15
	s_wait_alu 0xfffd
	v_cndmask_b32_e64 v8, -v8, v30, vcc_lo
	v_cmp_eq_u32_e32 vcc_lo, 0, v33
	v_cmp_class_f32_e64 s4, v15, 0x1f8
	s_cmp_lg_u32 s6, 0
	v_xor3_b32 v17, v17, v19, v18
	s_cselect_b32 s5, s5, 0
	s_wait_alu 0xfffd
	v_cndmask_b32_e32 v6, v32, v6, vcc_lo
	v_cmp_eq_u32_e32 vcc_lo, 0, v35
	s_cmp_lg_u32 s6, 1
	s_mov_b32 s34, s28
	s_cselect_b32 s25, s25, 0
	v_xor3_b32 v4, v5, v7, v6
	v_cndmask_b32_e64 v5, 0x7fc00000, v17, s4
	s_cmp_lg_u32 s6, 2
	s_cselect_b32 s26, s26, 0
	s_delay_alu instid0(VALU_DEP_2)
	v_cndmask_b32_e64 v4, 0x7fc00000, v4, s3
	v_fmaak_f32 v47, v34, v47, 0xbf000004
	s_cmp_lg_u32 s6, 3
	s_add_nc_u64 s[6:7], s[6:7], 1
	s_cselect_b32 s27, s27, 0
	s_add_co_i32 s28, s28, 48
	v_fma_f32 v34, v34, v47, 1.0
	s_wait_alu 0xfffe
	s_cmp_lg_u32 s28, 0xc0
	s_wait_alu 0xfffd
	s_delay_alu instid0(VALU_DEP_1) | instskip(SKIP_3) | instid1(VALU_DEP_1)
	v_cndmask_b32_e64 v0, -v0, v34, vcc_lo
	v_cmp_class_f32_e64 vcc_lo, v9, 0x1f8
	v_xor3_b32 v9, v11, v13, v12
	s_wait_alu 0xfffd
	v_cndmask_b32_e32 v7, 0x7fc00000, v9, vcc_lo
	s_delay_alu instid0(VALU_DEP_1) | instskip(NEXT) | instid1(VALU_DEP_1)
	v_dual_mul_f32 v9, v4, v7 :: v_dual_and_b32 v16, 0x80000000, v16
	v_xor_b32_e32 v14, v16, v14
	v_xor_b32_e32 v25, 0x80000000, v7
	s_delay_alu instid0(VALU_DEP_2)
	v_cndmask_b32_e32 v6, 0x7fc00000, v14, vcc_lo
	v_and_b32_e32 v22, 0x80000000, v22
	v_add_co_u32 v2, vcc_lo, v2, s31
	s_wait_alu 0xfffd
	v_add_co_ci_u32_e64 v3, null, 0, v3, vcc_lo
	v_mul_f32_e32 v21, v6, v5
	v_xor_b32_e32 v0, v22, v0
	v_mul_f32_e32 v26, v4, v6
	s_delay_alu instid0(VALU_DEP_2) | instskip(NEXT) | instid1(VALU_DEP_1)
	v_cndmask_b32_e64 v0, 0x7fc00000, v0, s4
	v_dual_mul_f32 v17, v6, v0 :: v_dual_and_b32 v10, 0x80000000, v10
	s_delay_alu instid0(VALU_DEP_1) | instskip(SKIP_1) | instid1(VALU_DEP_2)
	v_xor_b32_e32 v8, v10, v8
	v_mul_f32_e32 v12, v4, v0
	v_cndmask_b32_e64 v8, 0x7fc00000, v8, s3
	s_delay_alu instid0(VALU_DEP_1) | instskip(SKIP_3) | instid1(VALU_DEP_4)
	v_mul_f32_e32 v10, v8, v7
	v_mul_f32_e32 v11, v8, v5
	;; [unrolled: 1-line block ×5, first 2 shown]
	s_delay_alu instid0(VALU_DEP_4) | instskip(NEXT) | instid1(VALU_DEP_4)
	v_fma_f32 v18, v9, v0, -v11
	v_fmac_f32_e32 v22, v9, v5
	v_fma_f32 v23, v10, v5, -v12
	s_delay_alu instid0(VALU_DEP_4)
	v_fmac_f32_e32 v19, v4, v5
	s_wait_loadcnt 0x2
	scratch_store_b128 off, v[17:20], s34
	s_wait_loadcnt 0x1
	scratch_store_b128 off, v[21:24], s34 offset:16
	s_wait_loadcnt 0x0
	scratch_store_b128 off, v[25:28], s34 offset:32
	s_cbranch_scc0 .LBB2_26
.LBB2_2:                                ; =>This Inner Loop Header: Depth=1
	s_delay_alu instid0(VALU_DEP_1) | instskip(SKIP_1) | instid1(VALU_DEP_2)
	v_add_co_u32 v4, vcc_lo, s12, v2
	s_wait_alu 0xfffd
	v_add_co_ci_u32_e64 v5, null, s13, v3, vcc_lo
                                        ; implicit-def: $vgpr7
                                        ; implicit-def: $vgpr6
	global_load_b32 v4, v[4:5], off
	s_wait_loadcnt 0x0
	v_and_b32_e32 v5, 0x7fffffff, v4
	v_cmp_ngt_f32_e64 s34, 0x48000000, |v4|
	s_delay_alu instid0(VALU_DEP_2) | instskip(SKIP_1) | instid1(VALU_DEP_2)
	v_lshrrev_b32_e32 v0, 23, v5
	v_and_or_b32 v9, v5, s29, 0x800000
	v_add_nc_u32_e32 v11, 0xffffff88, v0
	s_and_saveexec_b32 s3, s34
	s_wait_alu 0xfffe
	s_xor_b32 s35, exec_lo, s3
	s_cbranch_execz .LBB2_4
; %bb.3:                                ;   in Loop: Header=BB2_2 Depth=1
	v_mad_co_u64_u32 v[6:7], null, 0xfe5163ab, v9, 0
	v_cmp_lt_u32_e32 vcc_lo, 63, v11
	s_delay_alu instid0(VALU_DEP_2) | instskip(NEXT) | instid1(VALU_DEP_1)
	v_mov_b32_e32 v0, v7
	v_mad_co_u64_u32 v[7:8], null, 0x3c439041, v9, v[0:1]
	s_delay_alu instid0(VALU_DEP_1) | instskip(SKIP_2) | instid1(VALU_DEP_2)
	v_mov_b32_e32 v0, v8
	s_wait_alu 0xfffd
	v_cndmask_b32_e64 v8, 0, 0xffffffc0, vcc_lo
	v_mad_co_u64_u32 v[12:13], null, 0xdb629599, v9, v[0:1]
	s_delay_alu instid0(VALU_DEP_2) | instskip(NEXT) | instid1(VALU_DEP_1)
	v_add_nc_u32_e32 v8, v8, v11
	v_cmp_lt_u32_e64 s3, 31, v8
	s_delay_alu instid0(VALU_DEP_3) | instskip(NEXT) | instid1(VALU_DEP_4)
	v_mov_b32_e32 v0, v13
	v_cndmask_b32_e32 v6, v12, v6, vcc_lo
	s_wait_alu 0xf1ff
	s_delay_alu instid0(VALU_DEP_3) | instskip(NEXT) | instid1(VALU_DEP_3)
	v_cndmask_b32_e64 v10, 0, 0xffffffe0, s3
	v_mad_co_u64_u32 v[13:14], null, 0xf534ddc0, v9, v[0:1]
	s_delay_alu instid0(VALU_DEP_2) | instskip(NEXT) | instid1(VALU_DEP_2)
	v_add_nc_u32_e32 v8, v10, v8
	v_mov_b32_e32 v0, v14
	s_delay_alu instid0(VALU_DEP_2) | instskip(NEXT) | instid1(VALU_DEP_4)
	v_cmp_lt_u32_e64 s4, 31, v8
	v_cndmask_b32_e32 v7, v13, v7, vcc_lo
	s_delay_alu instid0(VALU_DEP_3) | instskip(NEXT) | instid1(VALU_DEP_2)
	v_mad_co_u64_u32 v[14:15], null, 0xfc2757d1, v9, v[0:1]
	v_cndmask_b32_e64 v6, v7, v6, s3
	s_delay_alu instid0(VALU_DEP_2) | instskip(NEXT) | instid1(VALU_DEP_1)
	v_mov_b32_e32 v0, v15
	v_mad_co_u64_u32 v[15:16], null, 0x4e441529, v9, v[0:1]
	s_delay_alu instid0(VALU_DEP_1) | instskip(NEXT) | instid1(VALU_DEP_2)
	v_mov_b32_e32 v0, v16
	v_cndmask_b32_e32 v10, v15, v13, vcc_lo
	s_delay_alu instid0(VALU_DEP_2) | instskip(SKIP_2) | instid1(VALU_DEP_1)
	v_mad_co_u64_u32 v[16:17], null, 0xa2f9836e, v9, v[0:1]
	s_wait_alu 0xf1ff
	v_cndmask_b32_e64 v0, 0, 0xffffffe0, s4
	v_add_nc_u32_e32 v0, v0, v8
	s_delay_alu instid0(VALU_DEP_3) | instskip(SKIP_1) | instid1(VALU_DEP_3)
	v_dual_cndmask_b32 v16, v16, v14 :: v_dual_cndmask_b32 v15, v17, v15
	v_cndmask_b32_e32 v14, v14, v12, vcc_lo
	v_cmp_eq_u32_e32 vcc_lo, 0, v0
	s_delay_alu instid0(VALU_DEP_3) | instskip(NEXT) | instid1(VALU_DEP_4)
	v_cndmask_b32_e64 v8, v16, v10, s3
	v_cndmask_b32_e64 v13, v15, v16, s3
	s_delay_alu instid0(VALU_DEP_4) | instskip(SKIP_2) | instid1(VALU_DEP_4)
	v_cndmask_b32_e64 v10, v10, v14, s3
	v_sub_nc_u32_e32 v15, 32, v0
	v_cndmask_b32_e64 v14, v14, v7, s3
	v_cndmask_b32_e64 v13, v13, v8, s4
	s_delay_alu instid0(VALU_DEP_4) | instskip(NEXT) | instid1(VALU_DEP_3)
	v_cndmask_b32_e64 v8, v8, v10, s4
	v_cndmask_b32_e64 v10, v10, v14, s4
	;; [unrolled: 1-line block ×3, first 2 shown]
	s_delay_alu instid0(VALU_DEP_3) | instskip(NEXT) | instid1(VALU_DEP_3)
	v_alignbit_b32 v16, v13, v8, v15
	v_alignbit_b32 v12, v8, v10, v15
	s_delay_alu instid0(VALU_DEP_3) | instskip(SKIP_1) | instid1(VALU_DEP_3)
	v_alignbit_b32 v14, v10, v6, v15
	s_wait_alu 0xfffd
	v_cndmask_b32_e32 v0, v16, v13, vcc_lo
	s_delay_alu instid0(VALU_DEP_2) | instskip(NEXT) | instid1(VALU_DEP_2)
	v_dual_cndmask_b32 v7, v12, v8 :: v_dual_cndmask_b32 v10, v14, v10
	v_bfe_u32 v8, v0, 29, 1
	s_delay_alu instid0(VALU_DEP_2) | instskip(NEXT) | instid1(VALU_DEP_3)
	v_alignbit_b32 v12, v0, v7, 30
	v_alignbit_b32 v7, v7, v10, 30
	;; [unrolled: 1-line block ×3, first 2 shown]
	s_delay_alu instid0(VALU_DEP_4) | instskip(NEXT) | instid1(VALU_DEP_1)
	v_sub_nc_u32_e32 v13, 0, v8
	v_xor_b32_e32 v12, v12, v13
	s_delay_alu instid0(VALU_DEP_4) | instskip(NEXT) | instid1(VALU_DEP_4)
	v_xor_b32_e32 v7, v7, v13
	v_xor_b32_e32 v6, v6, v13
	v_lshrrev_b32_e32 v13, 29, v0
	v_lshrrev_b32_e32 v0, 30, v0
	v_clz_i32_u32_e32 v14, v12
	s_delay_alu instid0(VALU_DEP_1) | instskip(NEXT) | instid1(VALU_DEP_1)
	v_min_u32_e32 v14, 32, v14
	v_sub_nc_u32_e32 v10, 31, v14
	v_lshlrev_b32_e32 v15, 23, v14
	s_delay_alu instid0(VALU_DEP_2) | instskip(SKIP_2) | instid1(VALU_DEP_2)
	v_alignbit_b32 v12, v12, v7, v10
	v_alignbit_b32 v6, v7, v6, v10
	v_lshlrev_b32_e32 v7, 31, v13
	v_alignbit_b32 v10, v12, v6, 9
	s_delay_alu instid0(VALU_DEP_2) | instskip(SKIP_2) | instid1(VALU_DEP_4)
	v_or_b32_e32 v13, 0.5, v7
	v_lshrrev_b32_e32 v12, 9, v12
	v_or_b32_e32 v7, 0x33000000, v7
	v_clz_i32_u32_e32 v16, v10
	s_delay_alu instid0(VALU_DEP_4) | instskip(NEXT) | instid1(VALU_DEP_2)
	v_sub_nc_u32_e32 v13, v13, v15
	v_min_u32_e32 v15, 32, v16
	s_delay_alu instid0(VALU_DEP_2) | instskip(NEXT) | instid1(VALU_DEP_2)
	v_or_b32_e32 v12, v12, v13
	v_not_b32_e32 v13, v15
	s_delay_alu instid0(VALU_DEP_2) | instskip(SKIP_1) | instid1(VALU_DEP_3)
	v_mul_f32_e32 v16, 0x3fc90fda, v12
	v_add_lshl_u32 v14, v15, v14, 23
	v_alignbit_b32 v6, v10, v6, v13
	s_delay_alu instid0(VALU_DEP_3) | instskip(NEXT) | instid1(VALU_DEP_3)
	v_fma_f32 v10, 0x3fc90fda, v12, -v16
	v_sub_nc_u32_e32 v7, v7, v14
	s_delay_alu instid0(VALU_DEP_3) | instskip(NEXT) | instid1(VALU_DEP_3)
	v_lshrrev_b32_e32 v6, 9, v6
	v_fmac_f32_e32 v10, 0x33a22168, v12
	s_delay_alu instid0(VALU_DEP_2) | instskip(NEXT) | instid1(VALU_DEP_1)
	v_or_b32_e32 v6, v7, v6
	v_dual_fmac_f32 v10, 0x3fc90fda, v6 :: v_dual_add_nc_u32 v7, v8, v0
	s_delay_alu instid0(VALU_DEP_1)
	v_add_f32_e32 v6, v16, v10
.LBB2_4:                                ;   in Loop: Header=BB2_2 Depth=1
	s_or_saveexec_b32 s3, s35
	v_mul_f32_e64 v0, 0x3f22f983, |v4|
	s_delay_alu instid0(VALU_DEP_1)
	v_rndne_f32_e32 v0, v0
	s_wait_alu 0xfffe
	s_xor_b32 exec_lo, exec_lo, s3
; %bb.5:                                ;   in Loop: Header=BB2_2 Depth=1
	s_delay_alu instid0(VALU_DEP_1) | instskip(SKIP_1) | instid1(VALU_DEP_2)
	v_fma_f32 v6, 0xbfc90fda, v0, |v4|
	v_cvt_i32_f32_e32 v7, v0
	v_fmac_f32_e32 v6, 0xb3a22168, v0
	s_delay_alu instid0(VALU_DEP_1)
	v_fmac_f32_e32 v6, 0xa7c234c4, v0
; %bb.6:                                ;   in Loop: Header=BB2_2 Depth=1
	s_or_b32 exec_lo, exec_lo, s3
                                        ; implicit-def: $vgpr10
                                        ; implicit-def: $vgpr8
	s_and_saveexec_b32 s3, s34
	s_wait_alu 0xfffe
	s_xor_b32 s34, exec_lo, s3
	s_cbranch_execz .LBB2_8
; %bb.7:                                ;   in Loop: Header=BB2_2 Depth=1
	v_mad_co_u64_u32 v[12:13], null, 0xfe5163ab, v9, 0
	v_cmp_lt_u32_e32 vcc_lo, 63, v11
	s_wait_alu 0xfffd
	v_cndmask_b32_e64 v8, 0, 0xffffffc0, vcc_lo
	s_delay_alu instid0(VALU_DEP_3) | instskip(NEXT) | instid1(VALU_DEP_2)
	v_mov_b32_e32 v0, v13
	v_add_nc_u32_e32 v8, v8, v11
	s_delay_alu instid0(VALU_DEP_2) | instskip(NEXT) | instid1(VALU_DEP_2)
	v_mad_co_u64_u32 v[13:14], null, 0x3c439041, v9, v[0:1]
	v_cmp_lt_u32_e64 s3, 31, v8
	s_delay_alu instid0(VALU_DEP_2) | instskip(NEXT) | instid1(VALU_DEP_1)
	v_mov_b32_e32 v0, v14
	v_mad_co_u64_u32 v[14:15], null, 0xdb629599, v9, v[0:1]
	s_delay_alu instid0(VALU_DEP_1) | instskip(NEXT) | instid1(VALU_DEP_2)
	v_mov_b32_e32 v0, v15
	v_cndmask_b32_e32 v12, v14, v12, vcc_lo
	s_delay_alu instid0(VALU_DEP_2) | instskip(NEXT) | instid1(VALU_DEP_1)
	v_mad_co_u64_u32 v[15:16], null, 0xf534ddc0, v9, v[0:1]
	v_mov_b32_e32 v0, v16
	s_delay_alu instid0(VALU_DEP_1) | instskip(NEXT) | instid1(VALU_DEP_1)
	v_mad_co_u64_u32 v[16:17], null, 0xfc2757d1, v9, v[0:1]
	v_mov_b32_e32 v0, v17
	s_wait_alu 0xf1ff
	v_cndmask_b32_e64 v17, 0, 0xffffffe0, s3
	s_delay_alu instid0(VALU_DEP_2) | instskip(NEXT) | instid1(VALU_DEP_1)
	v_mad_co_u64_u32 v[10:11], null, 0x4e441529, v9, v[0:1]
	v_dual_mov_b32 v0, v11 :: v_dual_add_nc_u32 v11, v17, v8
	s_delay_alu instid0(VALU_DEP_2) | instskip(NEXT) | instid1(VALU_DEP_2)
	v_cndmask_b32_e32 v17, v10, v15, vcc_lo
	v_mad_co_u64_u32 v[8:9], null, 0xa2f9836e, v9, v[0:1]
	s_delay_alu instid0(VALU_DEP_3) | instskip(SKIP_1) | instid1(VALU_DEP_1)
	v_cmp_lt_u32_e64 s4, 31, v11
	s_wait_alu 0xf1ff
	v_cndmask_b32_e64 v0, 0, 0xffffffe0, s4
	s_delay_alu instid0(VALU_DEP_3) | instskip(SKIP_1) | instid1(VALU_DEP_3)
	v_dual_cndmask_b32 v8, v8, v16 :: v_dual_cndmask_b32 v9, v9, v10
	v_cndmask_b32_e32 v10, v16, v14, vcc_lo
	v_dual_cndmask_b32 v11, v15, v13 :: v_dual_add_nc_u32 v0, v0, v11
	s_delay_alu instid0(VALU_DEP_3) | instskip(NEXT) | instid1(VALU_DEP_4)
	v_cndmask_b32_e64 v13, v8, v17, s3
	v_cndmask_b32_e64 v8, v9, v8, s3
	s_delay_alu instid0(VALU_DEP_4) | instskip(NEXT) | instid1(VALU_DEP_4)
	v_cndmask_b32_e64 v9, v17, v10, s3
	v_sub_nc_u32_e32 v15, 32, v0
	v_cndmask_b32_e64 v10, v10, v11, s3
	v_cmp_eq_u32_e32 vcc_lo, 0, v0
	v_cndmask_b32_e64 v8, v8, v13, s4
	v_cndmask_b32_e64 v13, v13, v9, s4
	s_delay_alu instid0(VALU_DEP_4) | instskip(NEXT) | instid1(VALU_DEP_2)
	v_cndmask_b32_e64 v9, v9, v10, s4
	v_alignbit_b32 v16, v8, v13, v15
	s_delay_alu instid0(VALU_DEP_2) | instskip(SKIP_1) | instid1(VALU_DEP_2)
	v_alignbit_b32 v14, v13, v9, v15
	s_wait_alu 0xfffd
	v_cndmask_b32_e32 v0, v16, v8, vcc_lo
	v_cndmask_b32_e64 v8, v11, v12, s3
	s_delay_alu instid0(VALU_DEP_3) | instskip(NEXT) | instid1(VALU_DEP_3)
	v_cndmask_b32_e32 v11, v14, v13, vcc_lo
	v_bfe_u32 v12, v0, 29, 1
	s_delay_alu instid0(VALU_DEP_3) | instskip(NEXT) | instid1(VALU_DEP_3)
	v_cndmask_b32_e64 v8, v10, v8, s4
	v_alignbit_b32 v10, v0, v11, 30
	s_delay_alu instid0(VALU_DEP_3) | instskip(NEXT) | instid1(VALU_DEP_3)
	v_sub_nc_u32_e32 v13, 0, v12
	v_alignbit_b32 v14, v9, v8, v15
	s_delay_alu instid0(VALU_DEP_2) | instskip(NEXT) | instid1(VALU_DEP_2)
	v_xor_b32_e32 v10, v10, v13
	v_cndmask_b32_e32 v9, v14, v9, vcc_lo
	s_delay_alu instid0(VALU_DEP_2) | instskip(NEXT) | instid1(VALU_DEP_2)
	v_clz_i32_u32_e32 v14, v10
	v_alignbit_b32 v11, v11, v9, 30
	v_alignbit_b32 v8, v9, v8, 30
	s_delay_alu instid0(VALU_DEP_3) | instskip(NEXT) | instid1(VALU_DEP_3)
	v_min_u32_e32 v14, 32, v14
	v_xor_b32_e32 v9, v11, v13
	s_delay_alu instid0(VALU_DEP_3) | instskip(SKIP_4) | instid1(VALU_DEP_2)
	v_xor_b32_e32 v8, v8, v13
	v_lshrrev_b32_e32 v13, 29, v0
	v_lshrrev_b32_e32 v0, 30, v0
	v_sub_nc_u32_e32 v11, 31, v14
	v_lshlrev_b32_e32 v15, 23, v14
	v_alignbit_b32 v10, v10, v9, v11
	v_alignbit_b32 v8, v9, v8, v11
	v_lshlrev_b32_e32 v9, 31, v13
	s_delay_alu instid0(VALU_DEP_2) | instskip(NEXT) | instid1(VALU_DEP_2)
	v_alignbit_b32 v11, v10, v8, 9
	v_or_b32_e32 v13, 0.5, v9
	v_lshrrev_b32_e32 v10, 9, v10
	v_or_b32_e32 v9, 0x33000000, v9
	s_delay_alu instid0(VALU_DEP_4) | instskip(NEXT) | instid1(VALU_DEP_4)
	v_clz_i32_u32_e32 v16, v11
	v_sub_nc_u32_e32 v13, v13, v15
	s_delay_alu instid0(VALU_DEP_2) | instskip(NEXT) | instid1(VALU_DEP_2)
	v_min_u32_e32 v15, 32, v16
	v_or_b32_e32 v10, v10, v13
	s_delay_alu instid0(VALU_DEP_2) | instskip(NEXT) | instid1(VALU_DEP_2)
	v_not_b32_e32 v13, v15
	v_mul_f32_e32 v16, 0x3fc90fda, v10
	v_add_lshl_u32 v14, v15, v14, 23
	s_delay_alu instid0(VALU_DEP_3) | instskip(NEXT) | instid1(VALU_DEP_3)
	v_alignbit_b32 v8, v11, v8, v13
	v_fma_f32 v11, 0x3fc90fda, v10, -v16
	s_delay_alu instid0(VALU_DEP_3) | instskip(NEXT) | instid1(VALU_DEP_3)
	v_sub_nc_u32_e32 v9, v9, v14
	v_lshrrev_b32_e32 v8, 9, v8
	s_delay_alu instid0(VALU_DEP_3) | instskip(NEXT) | instid1(VALU_DEP_2)
	v_dual_fmac_f32 v11, 0x33a22168, v10 :: v_dual_add_nc_u32 v10, v12, v0
                                        ; implicit-def: $vgpr0
	v_or_b32_e32 v8, v9, v8
	s_delay_alu instid0(VALU_DEP_1) | instskip(NEXT) | instid1(VALU_DEP_1)
	v_fmac_f32_e32 v11, 0x3fc90fda, v8
	v_add_f32_e32 v8, v16, v11
	s_and_not1_saveexec_b32 s3, s34
	s_cbranch_execnz .LBB2_9
	s_branch .LBB2_10
.LBB2_8:                                ;   in Loop: Header=BB2_2 Depth=1
	s_and_not1_saveexec_b32 s3, s34
.LBB2_9:                                ;   in Loop: Header=BB2_2 Depth=1
	v_fma_f32 v8, 0xbfc90fda, v0, |v4|
	v_cvt_i32_f32_e32 v10, v0
	s_delay_alu instid0(VALU_DEP_2) | instskip(NEXT) | instid1(VALU_DEP_1)
	v_fmac_f32_e32 v8, 0xb3a22168, v0
	v_fmac_f32_e32 v8, 0xa7c234c4, v0
.LBB2_10:                               ;   in Loop: Header=BB2_2 Depth=1
	s_wait_alu 0xfffe
	s_or_b32 exec_lo, exec_lo, s3
	v_add_co_u32 v11, vcc_lo, s14, v2
	s_wait_alu 0xfffd
	v_add_co_ci_u32_e64 v12, null, s15, v3, vcc_lo
                                        ; implicit-def: $vgpr13
	global_load_b32 v9, v[11:12], off
                                        ; implicit-def: $vgpr12
	s_wait_loadcnt 0x0
	v_and_b32_e32 v11, 0x7fffffff, v9
	v_cmp_ngt_f32_e64 s34, 0x48000000, |v9|
	s_delay_alu instid0(VALU_DEP_2) | instskip(SKIP_1) | instid1(VALU_DEP_2)
	v_lshrrev_b32_e32 v0, 23, v11
	v_and_or_b32 v15, v11, s29, 0x800000
	v_add_nc_u32_e32 v17, 0xffffff88, v0
	s_and_saveexec_b32 s3, s34
	s_wait_alu 0xfffe
	s_xor_b32 s35, exec_lo, s3
	s_cbranch_execz .LBB2_12
; %bb.11:                               ;   in Loop: Header=BB2_2 Depth=1
	v_mad_co_u64_u32 v[12:13], null, 0xfe5163ab, v15, 0
	v_cmp_lt_u32_e32 vcc_lo, 63, v17
	s_delay_alu instid0(VALU_DEP_2) | instskip(NEXT) | instid1(VALU_DEP_1)
	v_mov_b32_e32 v0, v13
	v_mad_co_u64_u32 v[13:14], null, 0x3c439041, v15, v[0:1]
	s_delay_alu instid0(VALU_DEP_1) | instskip(SKIP_2) | instid1(VALU_DEP_2)
	v_mov_b32_e32 v0, v14
	s_wait_alu 0xfffd
	v_cndmask_b32_e64 v14, 0, 0xffffffc0, vcc_lo
	v_mad_co_u64_u32 v[18:19], null, 0xdb629599, v15, v[0:1]
	s_delay_alu instid0(VALU_DEP_2) | instskip(NEXT) | instid1(VALU_DEP_1)
	v_add_nc_u32_e32 v14, v14, v17
	v_cmp_lt_u32_e64 s3, 31, v14
	s_delay_alu instid0(VALU_DEP_3) | instskip(NEXT) | instid1(VALU_DEP_4)
	v_mov_b32_e32 v0, v19
	v_cndmask_b32_e32 v12, v18, v12, vcc_lo
	s_wait_alu 0xf1ff
	s_delay_alu instid0(VALU_DEP_3) | instskip(NEXT) | instid1(VALU_DEP_3)
	v_cndmask_b32_e64 v16, 0, 0xffffffe0, s3
	v_mad_co_u64_u32 v[19:20], null, 0xf534ddc0, v15, v[0:1]
	s_delay_alu instid0(VALU_DEP_2) | instskip(NEXT) | instid1(VALU_DEP_2)
	v_add_nc_u32_e32 v14, v16, v14
	v_mov_b32_e32 v0, v20
	s_delay_alu instid0(VALU_DEP_2) | instskip(NEXT) | instid1(VALU_DEP_4)
	v_cmp_lt_u32_e64 s4, 31, v14
	v_cndmask_b32_e32 v13, v19, v13, vcc_lo
	s_delay_alu instid0(VALU_DEP_3) | instskip(NEXT) | instid1(VALU_DEP_2)
	v_mad_co_u64_u32 v[20:21], null, 0xfc2757d1, v15, v[0:1]
	v_cndmask_b32_e64 v12, v13, v12, s3
	s_delay_alu instid0(VALU_DEP_2) | instskip(NEXT) | instid1(VALU_DEP_1)
	v_mov_b32_e32 v0, v21
	v_mad_co_u64_u32 v[21:22], null, 0x4e441529, v15, v[0:1]
	s_delay_alu instid0(VALU_DEP_1) | instskip(NEXT) | instid1(VALU_DEP_2)
	v_mov_b32_e32 v0, v22
	v_cndmask_b32_e32 v16, v21, v19, vcc_lo
	s_delay_alu instid0(VALU_DEP_2) | instskip(SKIP_2) | instid1(VALU_DEP_1)
	v_mad_co_u64_u32 v[22:23], null, 0xa2f9836e, v15, v[0:1]
	s_wait_alu 0xf1ff
	v_cndmask_b32_e64 v0, 0, 0xffffffe0, s4
	v_add_nc_u32_e32 v0, v0, v14
	s_delay_alu instid0(VALU_DEP_3) | instskip(SKIP_1) | instid1(VALU_DEP_3)
	v_dual_cndmask_b32 v22, v22, v20 :: v_dual_cndmask_b32 v21, v23, v21
	v_cndmask_b32_e32 v20, v20, v18, vcc_lo
	v_cmp_eq_u32_e32 vcc_lo, 0, v0
	s_delay_alu instid0(VALU_DEP_3) | instskip(NEXT) | instid1(VALU_DEP_4)
	v_cndmask_b32_e64 v14, v22, v16, s3
	v_cndmask_b32_e64 v19, v21, v22, s3
	s_delay_alu instid0(VALU_DEP_4) | instskip(SKIP_2) | instid1(VALU_DEP_4)
	v_cndmask_b32_e64 v16, v16, v20, s3
	v_sub_nc_u32_e32 v21, 32, v0
	v_cndmask_b32_e64 v20, v20, v13, s3
	v_cndmask_b32_e64 v19, v19, v14, s4
	s_delay_alu instid0(VALU_DEP_4) | instskip(NEXT) | instid1(VALU_DEP_3)
	v_cndmask_b32_e64 v14, v14, v16, s4
	v_cndmask_b32_e64 v16, v16, v20, s4
	;; [unrolled: 1-line block ×3, first 2 shown]
	s_delay_alu instid0(VALU_DEP_3) | instskip(NEXT) | instid1(VALU_DEP_3)
	v_alignbit_b32 v22, v19, v14, v21
	v_alignbit_b32 v18, v14, v16, v21
	s_delay_alu instid0(VALU_DEP_3) | instskip(SKIP_1) | instid1(VALU_DEP_3)
	v_alignbit_b32 v20, v16, v12, v21
	s_wait_alu 0xfffd
	v_cndmask_b32_e32 v0, v22, v19, vcc_lo
	s_delay_alu instid0(VALU_DEP_2) | instskip(NEXT) | instid1(VALU_DEP_2)
	v_dual_cndmask_b32 v13, v18, v14 :: v_dual_cndmask_b32 v16, v20, v16
	v_bfe_u32 v14, v0, 29, 1
	s_delay_alu instid0(VALU_DEP_2) | instskip(NEXT) | instid1(VALU_DEP_3)
	v_alignbit_b32 v18, v0, v13, 30
	v_alignbit_b32 v13, v13, v16, 30
	;; [unrolled: 1-line block ×3, first 2 shown]
	s_delay_alu instid0(VALU_DEP_4) | instskip(NEXT) | instid1(VALU_DEP_1)
	v_sub_nc_u32_e32 v19, 0, v14
	v_xor_b32_e32 v18, v18, v19
	s_delay_alu instid0(VALU_DEP_4) | instskip(NEXT) | instid1(VALU_DEP_4)
	v_xor_b32_e32 v13, v13, v19
	v_xor_b32_e32 v12, v12, v19
	v_lshrrev_b32_e32 v19, 29, v0
	v_lshrrev_b32_e32 v0, 30, v0
	v_clz_i32_u32_e32 v20, v18
	s_delay_alu instid0(VALU_DEP_1) | instskip(NEXT) | instid1(VALU_DEP_1)
	v_min_u32_e32 v20, 32, v20
	v_sub_nc_u32_e32 v16, 31, v20
	v_lshlrev_b32_e32 v21, 23, v20
	s_delay_alu instid0(VALU_DEP_2) | instskip(SKIP_2) | instid1(VALU_DEP_2)
	v_alignbit_b32 v18, v18, v13, v16
	v_alignbit_b32 v12, v13, v12, v16
	v_lshlrev_b32_e32 v13, 31, v19
	v_alignbit_b32 v16, v18, v12, 9
	s_delay_alu instid0(VALU_DEP_2) | instskip(SKIP_2) | instid1(VALU_DEP_4)
	v_or_b32_e32 v19, 0.5, v13
	v_lshrrev_b32_e32 v18, 9, v18
	v_or_b32_e32 v13, 0x33000000, v13
	v_clz_i32_u32_e32 v22, v16
	s_delay_alu instid0(VALU_DEP_4) | instskip(NEXT) | instid1(VALU_DEP_2)
	v_sub_nc_u32_e32 v19, v19, v21
	v_min_u32_e32 v21, 32, v22
	s_delay_alu instid0(VALU_DEP_2) | instskip(NEXT) | instid1(VALU_DEP_2)
	v_or_b32_e32 v18, v18, v19
	v_not_b32_e32 v19, v21
	s_delay_alu instid0(VALU_DEP_2) | instskip(SKIP_1) | instid1(VALU_DEP_3)
	v_mul_f32_e32 v22, 0x3fc90fda, v18
	v_add_lshl_u32 v20, v21, v20, 23
	v_alignbit_b32 v12, v16, v12, v19
	s_delay_alu instid0(VALU_DEP_3) | instskip(NEXT) | instid1(VALU_DEP_3)
	v_fma_f32 v16, 0x3fc90fda, v18, -v22
	v_sub_nc_u32_e32 v13, v13, v20
	s_delay_alu instid0(VALU_DEP_3) | instskip(NEXT) | instid1(VALU_DEP_3)
	v_lshrrev_b32_e32 v12, 9, v12
	v_fmac_f32_e32 v16, 0x33a22168, v18
	s_delay_alu instid0(VALU_DEP_2) | instskip(SKIP_1) | instid1(VALU_DEP_2)
	v_or_b32_e32 v12, v13, v12
	v_add_nc_u32_e32 v13, v14, v0
	v_fmac_f32_e32 v16, 0x3fc90fda, v12
	s_delay_alu instid0(VALU_DEP_1)
	v_add_f32_e32 v12, v22, v16
.LBB2_12:                               ;   in Loop: Header=BB2_2 Depth=1
	s_or_saveexec_b32 s3, s35
	v_mul_f32_e64 v0, 0x3f22f983, |v9|
	s_delay_alu instid0(VALU_DEP_1)
	v_rndne_f32_e32 v0, v0
	s_wait_alu 0xfffe
	s_xor_b32 exec_lo, exec_lo, s3
; %bb.13:                               ;   in Loop: Header=BB2_2 Depth=1
	s_delay_alu instid0(VALU_DEP_1) | instskip(SKIP_1) | instid1(VALU_DEP_2)
	v_fma_f32 v12, 0xbfc90fda, v0, |v9|
	v_cvt_i32_f32_e32 v13, v0
	v_fmac_f32_e32 v12, 0xb3a22168, v0
	s_delay_alu instid0(VALU_DEP_1)
	v_fmac_f32_e32 v12, 0xa7c234c4, v0
; %bb.14:                               ;   in Loop: Header=BB2_2 Depth=1
	s_or_b32 exec_lo, exec_lo, s3
                                        ; implicit-def: $vgpr16
                                        ; implicit-def: $vgpr14
	s_and_saveexec_b32 s3, s34
	s_wait_alu 0xfffe
	s_xor_b32 s34, exec_lo, s3
	s_cbranch_execz .LBB2_16
; %bb.15:                               ;   in Loop: Header=BB2_2 Depth=1
	v_mad_co_u64_u32 v[18:19], null, 0xfe5163ab, v15, 0
	v_cmp_lt_u32_e32 vcc_lo, 63, v17
	s_wait_alu 0xfffd
	v_cndmask_b32_e64 v14, 0, 0xffffffc0, vcc_lo
	s_delay_alu instid0(VALU_DEP_3) | instskip(NEXT) | instid1(VALU_DEP_2)
	v_mov_b32_e32 v0, v19
	v_add_nc_u32_e32 v14, v14, v17
	s_delay_alu instid0(VALU_DEP_2) | instskip(NEXT) | instid1(VALU_DEP_2)
	v_mad_co_u64_u32 v[19:20], null, 0x3c439041, v15, v[0:1]
	v_cmp_lt_u32_e64 s3, 31, v14
	s_delay_alu instid0(VALU_DEP_2) | instskip(NEXT) | instid1(VALU_DEP_1)
	v_mov_b32_e32 v0, v20
	v_mad_co_u64_u32 v[20:21], null, 0xdb629599, v15, v[0:1]
	s_delay_alu instid0(VALU_DEP_1) | instskip(NEXT) | instid1(VALU_DEP_2)
	v_mov_b32_e32 v0, v21
	v_cndmask_b32_e32 v18, v20, v18, vcc_lo
	s_delay_alu instid0(VALU_DEP_2) | instskip(NEXT) | instid1(VALU_DEP_1)
	v_mad_co_u64_u32 v[21:22], null, 0xf534ddc0, v15, v[0:1]
	v_mov_b32_e32 v0, v22
	s_delay_alu instid0(VALU_DEP_1) | instskip(NEXT) | instid1(VALU_DEP_1)
	v_mad_co_u64_u32 v[22:23], null, 0xfc2757d1, v15, v[0:1]
	v_mov_b32_e32 v0, v23
	s_wait_alu 0xf1ff
	v_cndmask_b32_e64 v23, 0, 0xffffffe0, s3
	s_delay_alu instid0(VALU_DEP_2) | instskip(NEXT) | instid1(VALU_DEP_1)
	v_mad_co_u64_u32 v[16:17], null, 0x4e441529, v15, v[0:1]
	v_dual_mov_b32 v0, v17 :: v_dual_add_nc_u32 v17, v23, v14
	s_delay_alu instid0(VALU_DEP_2) | instskip(NEXT) | instid1(VALU_DEP_2)
	v_cndmask_b32_e32 v23, v16, v21, vcc_lo
	v_mad_co_u64_u32 v[14:15], null, 0xa2f9836e, v15, v[0:1]
	s_delay_alu instid0(VALU_DEP_3) | instskip(SKIP_1) | instid1(VALU_DEP_1)
	v_cmp_lt_u32_e64 s4, 31, v17
	s_wait_alu 0xf1ff
	v_cndmask_b32_e64 v0, 0, 0xffffffe0, s4
	s_delay_alu instid0(VALU_DEP_3) | instskip(SKIP_1) | instid1(VALU_DEP_3)
	v_dual_cndmask_b32 v14, v14, v22 :: v_dual_cndmask_b32 v15, v15, v16
	v_cndmask_b32_e32 v16, v22, v20, vcc_lo
	v_dual_cndmask_b32 v17, v21, v19 :: v_dual_add_nc_u32 v0, v0, v17
	s_delay_alu instid0(VALU_DEP_3) | instskip(NEXT) | instid1(VALU_DEP_4)
	v_cndmask_b32_e64 v19, v14, v23, s3
	v_cndmask_b32_e64 v14, v15, v14, s3
	s_delay_alu instid0(VALU_DEP_4) | instskip(NEXT) | instid1(VALU_DEP_4)
	v_cndmask_b32_e64 v15, v23, v16, s3
	v_sub_nc_u32_e32 v21, 32, v0
	v_cndmask_b32_e64 v16, v16, v17, s3
	v_cmp_eq_u32_e32 vcc_lo, 0, v0
	v_cndmask_b32_e64 v14, v14, v19, s4
	v_cndmask_b32_e64 v19, v19, v15, s4
	s_delay_alu instid0(VALU_DEP_4) | instskip(NEXT) | instid1(VALU_DEP_2)
	v_cndmask_b32_e64 v15, v15, v16, s4
	v_alignbit_b32 v22, v14, v19, v21
	s_delay_alu instid0(VALU_DEP_2) | instskip(SKIP_1) | instid1(VALU_DEP_2)
	v_alignbit_b32 v20, v19, v15, v21
	s_wait_alu 0xfffd
	v_cndmask_b32_e32 v0, v22, v14, vcc_lo
	v_cndmask_b32_e64 v14, v17, v18, s3
	s_delay_alu instid0(VALU_DEP_3) | instskip(NEXT) | instid1(VALU_DEP_3)
	v_cndmask_b32_e32 v17, v20, v19, vcc_lo
	v_bfe_u32 v18, v0, 29, 1
	s_delay_alu instid0(VALU_DEP_3) | instskip(NEXT) | instid1(VALU_DEP_3)
	v_cndmask_b32_e64 v14, v16, v14, s4
	v_alignbit_b32 v16, v0, v17, 30
	s_delay_alu instid0(VALU_DEP_3) | instskip(NEXT) | instid1(VALU_DEP_3)
	v_sub_nc_u32_e32 v19, 0, v18
	v_alignbit_b32 v20, v15, v14, v21
	s_delay_alu instid0(VALU_DEP_2) | instskip(NEXT) | instid1(VALU_DEP_2)
	v_xor_b32_e32 v16, v16, v19
	v_cndmask_b32_e32 v15, v20, v15, vcc_lo
	s_delay_alu instid0(VALU_DEP_2) | instskip(NEXT) | instid1(VALU_DEP_2)
	v_clz_i32_u32_e32 v20, v16
	v_alignbit_b32 v17, v17, v15, 30
	v_alignbit_b32 v14, v15, v14, 30
	s_delay_alu instid0(VALU_DEP_3) | instskip(NEXT) | instid1(VALU_DEP_3)
	v_min_u32_e32 v20, 32, v20
	v_xor_b32_e32 v15, v17, v19
	s_delay_alu instid0(VALU_DEP_3) | instskip(SKIP_4) | instid1(VALU_DEP_2)
	v_xor_b32_e32 v14, v14, v19
	v_lshrrev_b32_e32 v19, 29, v0
	v_lshrrev_b32_e32 v0, 30, v0
	v_sub_nc_u32_e32 v17, 31, v20
	v_lshlrev_b32_e32 v21, 23, v20
	v_alignbit_b32 v16, v16, v15, v17
	v_alignbit_b32 v14, v15, v14, v17
	v_lshlrev_b32_e32 v15, 31, v19
	s_delay_alu instid0(VALU_DEP_2) | instskip(NEXT) | instid1(VALU_DEP_2)
	v_alignbit_b32 v17, v16, v14, 9
	v_or_b32_e32 v19, 0.5, v15
	v_lshrrev_b32_e32 v16, 9, v16
	v_or_b32_e32 v15, 0x33000000, v15
	s_delay_alu instid0(VALU_DEP_4) | instskip(NEXT) | instid1(VALU_DEP_4)
	v_clz_i32_u32_e32 v22, v17
	v_sub_nc_u32_e32 v19, v19, v21
	s_delay_alu instid0(VALU_DEP_2) | instskip(NEXT) | instid1(VALU_DEP_2)
	v_min_u32_e32 v21, 32, v22
	v_or_b32_e32 v16, v16, v19
	s_delay_alu instid0(VALU_DEP_2) | instskip(NEXT) | instid1(VALU_DEP_2)
	v_not_b32_e32 v19, v21
	v_mul_f32_e32 v22, 0x3fc90fda, v16
	v_add_lshl_u32 v20, v21, v20, 23
	s_delay_alu instid0(VALU_DEP_3) | instskip(NEXT) | instid1(VALU_DEP_3)
	v_alignbit_b32 v14, v17, v14, v19
	v_fma_f32 v17, 0x3fc90fda, v16, -v22
	s_delay_alu instid0(VALU_DEP_3) | instskip(NEXT) | instid1(VALU_DEP_3)
	v_sub_nc_u32_e32 v15, v15, v20
	v_lshrrev_b32_e32 v14, 9, v14
	s_delay_alu instid0(VALU_DEP_3) | instskip(SKIP_1) | instid1(VALU_DEP_3)
	v_fmac_f32_e32 v17, 0x33a22168, v16
	v_add_nc_u32_e32 v16, v18, v0
                                        ; implicit-def: $vgpr0
	v_or_b32_e32 v14, v15, v14
	s_delay_alu instid0(VALU_DEP_1) | instskip(NEXT) | instid1(VALU_DEP_1)
	v_fmac_f32_e32 v17, 0x3fc90fda, v14
	v_add_f32_e32 v14, v22, v17
	s_and_not1_saveexec_b32 s3, s34
	s_cbranch_execnz .LBB2_17
	s_branch .LBB2_18
.LBB2_16:                               ;   in Loop: Header=BB2_2 Depth=1
	s_and_not1_saveexec_b32 s3, s34
.LBB2_17:                               ;   in Loop: Header=BB2_2 Depth=1
	v_fma_f32 v14, 0xbfc90fda, v0, |v9|
	v_cvt_i32_f32_e32 v16, v0
	s_delay_alu instid0(VALU_DEP_2) | instskip(NEXT) | instid1(VALU_DEP_1)
	v_fmac_f32_e32 v14, 0xb3a22168, v0
	v_fmac_f32_e32 v14, 0xa7c234c4, v0
.LBB2_18:                               ;   in Loop: Header=BB2_2 Depth=1
	s_wait_alu 0xfffe
	s_or_b32 exec_lo, exec_lo, s3
	v_add_co_u32 v17, vcc_lo, s16, v2
	s_wait_alu 0xfffd
	v_add_co_ci_u32_e64 v18, null, s17, v3, vcc_lo
                                        ; implicit-def: $vgpr19
	global_load_b32 v15, v[17:18], off
                                        ; implicit-def: $vgpr18
	s_wait_loadcnt 0x0
	v_and_b32_e32 v17, 0x7fffffff, v15
	v_cmp_ngt_f32_e64 s34, 0x48000000, |v15|
	s_delay_alu instid0(VALU_DEP_2) | instskip(SKIP_1) | instid1(VALU_DEP_2)
	v_lshrrev_b32_e32 v0, 23, v17
	v_and_or_b32 v20, v17, s29, 0x800000
	v_add_nc_u32_e32 v21, 0xffffff88, v0
	s_and_saveexec_b32 s3, s34
	s_wait_alu 0xfffe
	s_xor_b32 s35, exec_lo, s3
	s_cbranch_execz .LBB2_20
; %bb.19:                               ;   in Loop: Header=BB2_2 Depth=1
	v_mad_co_u64_u32 v[18:19], null, 0xfe5163ab, v20, 0
	v_cmp_lt_u32_e32 vcc_lo, 63, v21
	s_delay_alu instid0(VALU_DEP_2) | instskip(SKIP_2) | instid1(VALU_DEP_1)
	v_mov_b32_e32 v0, v19
	s_wait_alu 0xfffd
	v_cndmask_b32_e64 v19, 0, 0xffffffc0, vcc_lo
	v_add_nc_u32_e32 v19, v19, v21
	s_delay_alu instid0(VALU_DEP_1) | instskip(SKIP_1) | instid1(VALU_DEP_1)
	v_cmp_lt_u32_e64 s3, 31, v19
	s_wait_alu 0xf1ff
	v_cndmask_b32_e64 v28, 0, 0xffffffe0, s3
	s_delay_alu instid0(VALU_DEP_1) | instskip(SKIP_1) | instid1(VALU_DEP_2)
	v_add_nc_u32_e32 v19, v28, v19
	v_mad_co_u64_u32 v[22:23], null, 0x3c439041, v20, v[0:1]
	v_cmp_lt_u32_e64 s4, 31, v19
	s_delay_alu instid0(VALU_DEP_2) | instskip(NEXT) | instid1(VALU_DEP_1)
	v_mov_b32_e32 v0, v23
	v_mad_co_u64_u32 v[23:24], null, 0xdb629599, v20, v[0:1]
	s_delay_alu instid0(VALU_DEP_1) | instskip(NEXT) | instid1(VALU_DEP_2)
	v_mov_b32_e32 v0, v24
	v_cndmask_b32_e32 v18, v23, v18, vcc_lo
	s_delay_alu instid0(VALU_DEP_2) | instskip(NEXT) | instid1(VALU_DEP_1)
	v_mad_co_u64_u32 v[24:25], null, 0xf534ddc0, v20, v[0:1]
	v_mov_b32_e32 v0, v25
	s_delay_alu instid0(VALU_DEP_1) | instskip(NEXT) | instid1(VALU_DEP_1)
	v_mad_co_u64_u32 v[25:26], null, 0xfc2757d1, v20, v[0:1]
	v_mov_b32_e32 v0, v26
	s_delay_alu instid0(VALU_DEP_1) | instskip(NEXT) | instid1(VALU_DEP_1)
	v_mad_co_u64_u32 v[26:27], null, 0x4e441529, v20, v[0:1]
	v_dual_mov_b32 v0, v27 :: v_dual_cndmask_b32 v29, v26, v24
	s_delay_alu instid0(VALU_DEP_1) | instskip(SKIP_2) | instid1(VALU_DEP_1)
	v_mad_co_u64_u32 v[27:28], null, 0xa2f9836e, v20, v[0:1]
	s_wait_alu 0xf1ff
	v_cndmask_b32_e64 v0, 0, 0xffffffe0, s4
	v_dual_cndmask_b32 v27, v27, v25 :: v_dual_add_nc_u32 v0, v0, v19
	s_delay_alu instid0(VALU_DEP_3) | instskip(SKIP_1) | instid1(VALU_DEP_3)
	v_dual_cndmask_b32 v26, v28, v26 :: v_dual_cndmask_b32 v25, v25, v23
	v_cndmask_b32_e32 v19, v24, v22, vcc_lo
	v_cmp_eq_u32_e32 vcc_lo, 0, v0
	s_delay_alu instid0(VALU_DEP_4) | instskip(NEXT) | instid1(VALU_DEP_4)
	v_cndmask_b32_e64 v22, v27, v29, s3
	v_cndmask_b32_e64 v24, v26, v27, s3
	;; [unrolled: 1-line block ×3, first 2 shown]
	v_sub_nc_u32_e32 v27, 32, v0
	v_cndmask_b32_e64 v25, v25, v19, s3
	v_cndmask_b32_e64 v18, v19, v18, s3
	;; [unrolled: 1-line block ×4, first 2 shown]
	s_delay_alu instid0(VALU_DEP_4) | instskip(NEXT) | instid1(VALU_DEP_4)
	v_cndmask_b32_e64 v26, v26, v25, s4
	v_cndmask_b32_e64 v18, v25, v18, s4
	s_delay_alu instid0(VALU_DEP_3) | instskip(NEXT) | instid1(VALU_DEP_3)
	v_alignbit_b32 v28, v24, v22, v27
	v_alignbit_b32 v23, v22, v26, v27
	s_delay_alu instid0(VALU_DEP_3) | instskip(SKIP_1) | instid1(VALU_DEP_2)
	v_alignbit_b32 v25, v26, v18, v27
	s_wait_alu 0xfffd
	v_dual_cndmask_b32 v0, v28, v24 :: v_dual_cndmask_b32 v19, v23, v22
	s_delay_alu instid0(VALU_DEP_2) | instskip(NEXT) | instid1(VALU_DEP_2)
	v_cndmask_b32_e32 v25, v25, v26, vcc_lo
	v_bfe_u32 v22, v0, 29, 1
	s_delay_alu instid0(VALU_DEP_3) | instskip(NEXT) | instid1(VALU_DEP_3)
	v_alignbit_b32 v23, v0, v19, 30
	v_alignbit_b32 v19, v19, v25, 30
	;; [unrolled: 1-line block ×3, first 2 shown]
	s_delay_alu instid0(VALU_DEP_4) | instskip(NEXT) | instid1(VALU_DEP_1)
	v_sub_nc_u32_e32 v24, 0, v22
	v_xor_b32_e32 v23, v23, v24
	s_delay_alu instid0(VALU_DEP_4) | instskip(NEXT) | instid1(VALU_DEP_4)
	v_xor_b32_e32 v19, v19, v24
	v_xor_b32_e32 v18, v18, v24
	s_delay_alu instid0(VALU_DEP_3) | instskip(NEXT) | instid1(VALU_DEP_1)
	v_clz_i32_u32_e32 v26, v23
	v_min_u32_e32 v26, 32, v26
	s_delay_alu instid0(VALU_DEP_1) | instskip(SKIP_3) | instid1(VALU_DEP_4)
	v_sub_nc_u32_e32 v25, 31, v26
	v_lshlrev_b32_e32 v27, 23, v26
	v_lshrrev_b32_e32 v24, 29, v0
	v_lshrrev_b32_e32 v0, 30, v0
	v_alignbit_b32 v23, v23, v19, v25
	v_alignbit_b32 v18, v19, v18, v25
	s_delay_alu instid0(VALU_DEP_4) | instskip(NEXT) | instid1(VALU_DEP_2)
	v_lshlrev_b32_e32 v19, 31, v24
	v_alignbit_b32 v24, v23, v18, 9
	s_delay_alu instid0(VALU_DEP_2) | instskip(SKIP_2) | instid1(VALU_DEP_4)
	v_or_b32_e32 v25, 0.5, v19
	v_lshrrev_b32_e32 v23, 9, v23
	v_or_b32_e32 v19, 0x33000000, v19
	v_clz_i32_u32_e32 v28, v24
	s_delay_alu instid0(VALU_DEP_4) | instskip(NEXT) | instid1(VALU_DEP_2)
	v_sub_nc_u32_e32 v25, v25, v27
	v_min_u32_e32 v27, 32, v28
	s_delay_alu instid0(VALU_DEP_2) | instskip(NEXT) | instid1(VALU_DEP_2)
	v_or_b32_e32 v23, v23, v25
	v_not_b32_e32 v25, v27
	v_add_lshl_u32 v26, v27, v26, 23
	s_delay_alu instid0(VALU_DEP_3) | instskip(NEXT) | instid1(VALU_DEP_3)
	v_mul_f32_e32 v28, 0x3fc90fda, v23
	v_alignbit_b32 v18, v24, v18, v25
	s_delay_alu instid0(VALU_DEP_3) | instskip(NEXT) | instid1(VALU_DEP_2)
	v_sub_nc_u32_e32 v19, v19, v26
	v_lshrrev_b32_e32 v18, 9, v18
	s_delay_alu instid0(VALU_DEP_1) | instskip(SKIP_2) | instid1(VALU_DEP_1)
	v_or_b32_e32 v18, v19, v18
	v_add_nc_u32_e32 v19, v22, v0
	v_fma_f32 v24, 0x3fc90fda, v23, -v28
	v_fmac_f32_e32 v24, 0x33a22168, v23
	s_delay_alu instid0(VALU_DEP_1) | instskip(NEXT) | instid1(VALU_DEP_1)
	v_fmac_f32_e32 v24, 0x3fc90fda, v18
	v_add_f32_e32 v18, v28, v24
.LBB2_20:                               ;   in Loop: Header=BB2_2 Depth=1
	s_or_saveexec_b32 s3, s35
	v_mul_f32_e64 v0, 0x3f22f983, |v15|
	s_delay_alu instid0(VALU_DEP_1)
	v_rndne_f32_e32 v23, v0
	s_wait_alu 0xfffe
	s_xor_b32 exec_lo, exec_lo, s3
; %bb.21:                               ;   in Loop: Header=BB2_2 Depth=1
	s_delay_alu instid0(VALU_DEP_1) | instskip(SKIP_1) | instid1(VALU_DEP_2)
	v_fma_f32 v18, 0xbfc90fda, v23, |v15|
	v_cvt_i32_f32_e32 v19, v23
	v_fmac_f32_e32 v18, 0xb3a22168, v23
	s_delay_alu instid0(VALU_DEP_1)
	v_fmac_f32_e32 v18, 0xa7c234c4, v23
; %bb.22:                               ;   in Loop: Header=BB2_2 Depth=1
	s_or_b32 exec_lo, exec_lo, s3
                                        ; implicit-def: $vgpr22
                                        ; implicit-def: $vgpr0
	s_and_saveexec_b32 s3, s34
	s_wait_alu 0xfffe
	s_xor_b32 s34, exec_lo, s3
	s_cbranch_execz .LBB2_24
; %bb.23:                               ;   in Loop: Header=BB2_2 Depth=1
	v_mad_co_u64_u32 v[22:23], null, 0xfe5163ab, v20, 0
	v_cmp_lt_u32_e32 vcc_lo, 63, v21
	s_wait_alu 0xfffd
	v_cndmask_b32_e64 v28, 0, 0xffffffc0, vcc_lo
	s_delay_alu instid0(VALU_DEP_1) | instskip(NEXT) | instid1(VALU_DEP_1)
	v_dual_mov_b32 v0, v23 :: v_dual_add_nc_u32 v21, v28, v21
	v_mad_co_u64_u32 v[23:24], null, 0x3c439041, v20, v[0:1]
	s_delay_alu instid0(VALU_DEP_2) | instskip(NEXT) | instid1(VALU_DEP_2)
	v_cmp_lt_u32_e64 s3, 31, v21
	v_mov_b32_e32 v0, v24
	s_wait_alu 0xf1ff
	s_delay_alu instid0(VALU_DEP_2) | instskip(NEXT) | instid1(VALU_DEP_2)
	v_cndmask_b32_e64 v29, 0, 0xffffffe0, s3
	v_mad_co_u64_u32 v[24:25], null, 0xdb629599, v20, v[0:1]
	s_delay_alu instid0(VALU_DEP_1) | instskip(NEXT) | instid1(VALU_DEP_2)
	v_mov_b32_e32 v0, v25
	v_cndmask_b32_e32 v22, v24, v22, vcc_lo
	s_delay_alu instid0(VALU_DEP_2) | instskip(NEXT) | instid1(VALU_DEP_1)
	v_mad_co_u64_u32 v[25:26], null, 0xf534ddc0, v20, v[0:1]
	v_dual_mov_b32 v0, v26 :: v_dual_cndmask_b32 v23, v25, v23
	s_delay_alu instid0(VALU_DEP_1) | instskip(NEXT) | instid1(VALU_DEP_1)
	v_mad_co_u64_u32 v[26:27], null, 0xfc2757d1, v20, v[0:1]
	v_mov_b32_e32 v0, v27
	s_delay_alu instid0(VALU_DEP_1) | instskip(NEXT) | instid1(VALU_DEP_1)
	v_mad_co_u64_u32 v[27:28], null, 0x4e441529, v20, v[0:1]
	v_mov_b32_e32 v0, v28
	v_add_nc_u32_e32 v28, v29, v21
	s_delay_alu instid0(VALU_DEP_3) | instskip(NEXT) | instid1(VALU_DEP_3)
	v_cndmask_b32_e32 v29, v27, v25, vcc_lo
	v_mad_co_u64_u32 v[20:21], null, 0xa2f9836e, v20, v[0:1]
	s_delay_alu instid0(VALU_DEP_3) | instskip(SKIP_1) | instid1(VALU_DEP_1)
	v_cmp_lt_u32_e64 s4, 31, v28
	s_wait_alu 0xf1ff
	v_cndmask_b32_e64 v0, 0, 0xffffffe0, s4
	s_delay_alu instid0(VALU_DEP_3) | instskip(SKIP_1) | instid1(VALU_DEP_3)
	v_dual_cndmask_b32 v20, v20, v26 :: v_dual_cndmask_b32 v21, v21, v27
	v_cndmask_b32_e32 v26, v26, v24, vcc_lo
	v_add_nc_u32_e32 v0, v0, v28
	s_delay_alu instid0(VALU_DEP_3) | instskip(NEXT) | instid1(VALU_DEP_4)
	v_cndmask_b32_e64 v25, v20, v29, s3
	v_cndmask_b32_e64 v20, v21, v20, s3
	s_delay_alu instid0(VALU_DEP_4)
	v_cndmask_b32_e64 v21, v29, v26, s3
	v_cndmask_b32_e64 v26, v26, v23, s3
	v_sub_nc_u32_e32 v27, 32, v0
	v_cmp_eq_u32_e32 vcc_lo, 0, v0
	v_cndmask_b32_e64 v20, v20, v25, s4
	v_cndmask_b32_e64 v25, v25, v21, s4
	;; [unrolled: 1-line block ×3, first 2 shown]
	s_delay_alu instid0(VALU_DEP_2) | instskip(NEXT) | instid1(VALU_DEP_2)
	v_alignbit_b32 v28, v20, v25, v27
	v_alignbit_b32 v24, v25, v21, v27
	s_wait_alu 0xfffd
	s_delay_alu instid0(VALU_DEP_2) | instskip(SKIP_1) | instid1(VALU_DEP_3)
	v_cndmask_b32_e32 v0, v28, v20, vcc_lo
	v_cndmask_b32_e64 v20, v23, v22, s3
	v_cndmask_b32_e32 v22, v24, v25, vcc_lo
	s_delay_alu instid0(VALU_DEP_3) | instskip(NEXT) | instid1(VALU_DEP_3)
	v_bfe_u32 v23, v0, 29, 1
	v_cndmask_b32_e64 v20, v26, v20, s4
	s_delay_alu instid0(VALU_DEP_3) | instskip(NEXT) | instid1(VALU_DEP_3)
	v_alignbit_b32 v24, v0, v22, 30
	v_sub_nc_u32_e32 v25, 0, v23
	s_delay_alu instid0(VALU_DEP_3) | instskip(NEXT) | instid1(VALU_DEP_2)
	v_alignbit_b32 v26, v21, v20, v27
	v_xor_b32_e32 v24, v24, v25
	s_delay_alu instid0(VALU_DEP_2) | instskip(NEXT) | instid1(VALU_DEP_2)
	v_cndmask_b32_e32 v21, v26, v21, vcc_lo
	v_clz_i32_u32_e32 v26, v24
	s_delay_alu instid0(VALU_DEP_2) | instskip(SKIP_1) | instid1(VALU_DEP_3)
	v_alignbit_b32 v22, v22, v21, 30
	v_alignbit_b32 v20, v21, v20, 30
	v_min_u32_e32 v26, 32, v26
	s_delay_alu instid0(VALU_DEP_3) | instskip(NEXT) | instid1(VALU_DEP_3)
	v_xor_b32_e32 v21, v22, v25
	v_xor_b32_e32 v20, v20, v25
	s_delay_alu instid0(VALU_DEP_3) | instskip(SKIP_2) | instid1(VALU_DEP_3)
	v_sub_nc_u32_e32 v22, 31, v26
	v_lshlrev_b32_e32 v27, 23, v26
	v_lshrrev_b32_e32 v25, 29, v0
	v_alignbit_b32 v24, v24, v21, v22
	v_alignbit_b32 v20, v21, v20, v22
	s_delay_alu instid0(VALU_DEP_3) | instskip(NEXT) | instid1(VALU_DEP_2)
	v_lshlrev_b32_e32 v21, 31, v25
	v_alignbit_b32 v22, v24, v20, 9
	s_delay_alu instid0(VALU_DEP_2) | instskip(SKIP_2) | instid1(VALU_DEP_4)
	v_or_b32_e32 v25, 0.5, v21
	v_lshrrev_b32_e32 v24, 9, v24
	v_or_b32_e32 v21, 0x33000000, v21
	v_clz_i32_u32_e32 v28, v22
	s_delay_alu instid0(VALU_DEP_4) | instskip(NEXT) | instid1(VALU_DEP_2)
	v_sub_nc_u32_e32 v25, v25, v27
	v_min_u32_e32 v27, 32, v28
	s_delay_alu instid0(VALU_DEP_2) | instskip(NEXT) | instid1(VALU_DEP_2)
	v_or_b32_e32 v24, v24, v25
	v_not_b32_e32 v25, v27
	s_delay_alu instid0(VALU_DEP_2) | instskip(SKIP_1) | instid1(VALU_DEP_3)
	v_mul_f32_e32 v28, 0x3fc90fda, v24
	v_add_lshl_u32 v26, v27, v26, 23
	v_alignbit_b32 v20, v22, v20, v25
	s_delay_alu instid0(VALU_DEP_3) | instskip(NEXT) | instid1(VALU_DEP_3)
	v_fma_f32 v22, 0x3fc90fda, v24, -v28
	v_sub_nc_u32_e32 v21, v21, v26
	s_delay_alu instid0(VALU_DEP_3) | instskip(NEXT) | instid1(VALU_DEP_3)
	v_lshrrev_b32_e32 v20, 9, v20
	v_fmac_f32_e32 v22, 0x33a22168, v24
	s_delay_alu instid0(VALU_DEP_2) | instskip(NEXT) | instid1(VALU_DEP_1)
	v_or_b32_e32 v20, v21, v20
	v_fmac_f32_e32 v22, 0x3fc90fda, v20
	v_lshrrev_b32_e32 v20, 30, v0
	s_delay_alu instid0(VALU_DEP_2) | instskip(NEXT) | instid1(VALU_DEP_2)
	v_add_f32_e32 v0, v28, v22
	v_add_nc_u32_e32 v22, v23, v20
                                        ; implicit-def: $vgpr23
	s_and_not1_saveexec_b32 s3, s34
	s_cbranch_execz .LBB2_1
	s_branch .LBB2_25
.LBB2_24:                               ;   in Loop: Header=BB2_2 Depth=1
	s_and_not1_saveexec_b32 s3, s34
	s_cbranch_execz .LBB2_1
.LBB2_25:                               ;   in Loop: Header=BB2_2 Depth=1
	v_fma_f32 v0, 0xbfc90fda, v23, |v15|
	v_cvt_i32_f32_e32 v22, v23
	s_delay_alu instid0(VALU_DEP_2) | instskip(NEXT) | instid1(VALU_DEP_1)
	v_fmac_f32_e32 v0, 0xb3a22168, v23
	v_fmac_f32_e32 v0, 0xa7c234c4, v23
	s_branch .LBB2_1
.LBB2_26:
	s_clause 0xb
	scratch_load_b128 v[0:3], off, off
	scratch_load_b128 v[4:7], off, off offset:16
	scratch_load_b128 v[8:11], off, off offset:32
	;; [unrolled: 1-line block ×11, first 2 shown]
	s_clause 0x1
	s_load_b64 s[6:7], s[0:1], 0x0
	s_load_b128 s[12:15], s[0:1], 0x48
	v_dual_mov_b32 v56, s5 :: v_dual_mov_b32 v57, s25
	v_dual_mov_b32 v55, s26 :: v_dual_mov_b32 v54, s27
	v_mov_b32_e32 v53, 0
	s_mov_b32 s17, 0
	s_add_nc_u64 s[18:19], s[8:9], 8
	s_wait_alu 0xfffe
	s_mov_b32 s16, s17
	s_wait_kmcnt 0x0
	s_max_i32 s22, s7, 1
	s_max_i32 s23, s6, 1
.LBB2_27:                               ; =>This Loop Header: Depth=1
                                        ;     Child Loop BB2_28 Depth 2
	s_wait_alu 0xfffe
	s_lshl_b64 s[0:1], s[16:17], 4
	s_mov_b32 s25, s22
	s_wait_alu 0xfffe
	s_add_nc_u64 s[0:1], s[10:11], s[0:1]
	s_mov_b64 s[20:21], s[18:19]
	global_load_b128 v[69:72], v53, s[0:1]
	s_wait_loadcnt 0x0
	v_ashrrev_i32_e32 v49, 31, v72
	v_fma_f32 v59, v69, v4, v7
	v_mov_b32_e32 v48, v72
	v_fma_f32 v58, v69, v0, v3
	v_fma_f32 v60, v69, v8, v11
	;; [unrolled: 1-line block ×3, first 2 shown]
	v_fmac_f32_e32 v59, v70, v5
	v_lshlrev_b64_e32 v[48:49], 4, v[48:49]
	v_fmac_f32_e32 v58, v70, v1
	v_fma_f32 v62, v69, v16, v19
	v_fma_f32 v63, v69, v20, v23
	v_fmac_f32_e32 v59, v71, v6
	s_delay_alu instid0(VALU_DEP_4) | instskip(SKIP_3) | instid1(VALU_DEP_3)
	v_dual_fmac_f32 v61, v70, v13 :: v_dual_fmac_f32 v58, v71, v2
	v_add_co_u32 v48, vcc_lo, s14, v48
	s_wait_alu 0xfffd
	v_add_co_ci_u32_e64 v49, null, s15, v49, vcc_lo
	v_dual_fmac_f32 v60, v70, v9 :: v_dual_fmac_f32 v61, v71, v14
	v_fma_f32 v64, v69, v24, v27
	global_load_b128 v[48:51], v[48:49], off
	v_fma_f32 v65, v69, v28, v31
	v_dual_fmac_f32 v63, v70, v21 :: v_dual_fmac_f32 v60, v71, v10
	v_fmac_f32_e32 v62, v70, v17
	v_fma_f32 v66, v69, v32, v35
	v_fma_f32 v67, v69, v36, v39
	s_delay_alu instid0(VALU_DEP_4) | instskip(NEXT) | instid1(VALU_DEP_4)
	v_fmac_f32_e32 v63, v71, v22
	v_dual_fmac_f32 v65, v70, v29 :: v_dual_fmac_f32 v62, v71, v18
	v_fmac_f32_e32 v64, v70, v25
	v_fma_f32 v68, v69, v40, v43
	v_fma_f32 v69, v69, v44, v47
	s_delay_alu instid0(VALU_DEP_4) | instskip(NEXT) | instid1(VALU_DEP_4)
	v_fmac_f32_e32 v65, v71, v30
	v_dual_fmac_f32 v67, v70, v37 :: v_dual_fmac_f32 v64, v71, v26
	s_delay_alu instid0(VALU_DEP_1) | instskip(NEXT) | instid1(VALU_DEP_1)
	v_dual_fmac_f32 v66, v70, v33 :: v_dual_fmac_f32 v67, v71, v38
	v_dual_fmac_f32 v69, v70, v45 :: v_dual_fmac_f32 v66, v71, v34
	s_delay_alu instid0(VALU_DEP_1) | instskip(NEXT) | instid1(VALU_DEP_1)
	v_dual_fmac_f32 v68, v70, v41 :: v_dual_fmac_f32 v69, v71, v46
	v_fmac_f32_e32 v68, v71, v42
	s_wait_loadcnt 0x0
	v_readfirstlane_b32 s26, v50
	v_readfirstlane_b32 s0, v48
	s_cmp_gt_f32 s26, 0
	s_cselect_b32 s27, -1, 0
	s_wait_alu 0xfffe
	s_cmp_eq_u32 s0, 0x46
	s_cselect_b32 s28, -1, 0
	s_cmp_eq_u32 s0, 0x45
	s_cselect_b32 s29, -1, 0
	s_cmp_lt_f32 s26, 0
	s_cselect_b32 s30, -1, 0
	s_wait_alu 0xfffe
	s_and_b32 s0, s30, exec_lo
	s_cselect_b32 s31, 0x40b00000, 1.0
	s_cselect_b32 s33, 1.0, 0xff7fffff
	s_xor_b32 s34, s26, 0x80000000
.LBB2_28:                               ;   Parent Loop BB2_27 Depth=1
                                        ; =>  This Inner Loop Header: Depth=2
	global_load_b128 v[70:73], v53, s[20:21] offset:-8
	s_add_nc_u64 s[20:21], s[20:21], 16
	s_wait_loadcnt 0x0
	v_ashrrev_i32_e32 v74, 31, v73
	v_dual_sub_f32 v50, v59, v71 :: v_dual_sub_f32 v81, v64, v70
	v_dual_sub_f32 v78, v61, v70 :: v_dual_sub_f32 v79, v62, v71
	s_delay_alu instid0(VALU_DEP_3) | instskip(SKIP_3) | instid1(VALU_DEP_4)
	v_lshlrev_b64_e32 v[73:74], 4, v[73:74]
	v_dual_sub_f32 v48, v58, v70 :: v_dual_sub_f32 v77, v60, v72
	v_sub_f32_e32 v80, v63, v72
	v_dual_sub_f32 v82, v65, v71 :: v_dual_sub_f32 v83, v66, v72
	v_add_co_u32 v73, vcc_lo, s14, v73
	s_wait_alu 0xfffd
	v_add_co_ci_u32_e64 v74, null, s15, v74, vcc_lo
	v_dual_sub_f32 v71, v68, v71 :: v_dual_sub_f32 v72, v69, v72
	v_mul_f32_e32 v79, v79, v79
	global_load_b128 v[73:76], v[73:74], off
	v_dual_mul_f32 v50, v50, v50 :: v_dual_mul_f32 v71, v71, v71
	v_fmac_f32_e32 v79, v78, v78
	v_sub_f32_e32 v70, v67, v70
	s_delay_alu instid0(VALU_DEP_3) | instskip(NEXT) | instid1(VALU_DEP_3)
	v_fmac_f32_e32 v50, v48, v48
	v_fmac_f32_e32 v79, v80, v80
	s_delay_alu instid0(VALU_DEP_2) | instskip(SKIP_1) | instid1(VALU_DEP_2)
	v_dual_fmac_f32 v71, v70, v70 :: v_dual_fmac_f32 v50, v77, v77
	v_mul_f32_e32 v82, v82, v82
	v_dual_mul_f32 v70, 0x4f800000, v79 :: v_dual_fmac_f32 v71, v72, v72
	s_delay_alu instid0(VALU_DEP_3) | instskip(NEXT) | instid1(VALU_DEP_3)
	v_mul_f32_e32 v48, 0x4f800000, v50
	v_fmac_f32_e32 v82, v81, v81
	v_cmp_gt_f32_e32 vcc_lo, 0xf800000, v79
	v_cmp_gt_f32_e64 s3, 0xf800000, v50
	v_mul_f32_e32 v77, 0x4f800000, v71
	v_cmp_gt_f32_e64 s1, 0xf800000, v71
	v_fmac_f32_e32 v82, v83, v83
	s_wait_alu 0xf1ff
	v_cndmask_b32_e64 v48, v50, v48, s3
	s_wait_alu 0xfffd
	v_cndmask_b32_e32 v50, v79, v70, vcc_lo
	v_cndmask_b32_e64 v71, v71, v77, s1
	v_cmp_gt_f32_e64 s0, 0xf800000, v82
	s_delay_alu instid0(VALU_DEP_3) | instskip(NEXT) | instid1(VALU_DEP_2)
	v_sqrt_f32_e32 v77, v50
	v_sqrt_f32_e32 v79, v71
	s_delay_alu instid0(TRANS32_DEP_2) | instskip(NEXT) | instid1(TRANS32_DEP_1)
	v_dual_mul_f32 v72, 0x4f800000, v82 :: v_dual_add_nc_u32 v83, 1, v77
	v_add_nc_u32_e32 v87, 1, v79
	s_wait_alu 0xf1fe
	s_delay_alu instid0(VALU_DEP_2)
	v_cndmask_b32_e64 v70, v82, v72, s0
	v_add_nc_u32_e32 v86, -1, v79
	v_sqrt_f32_e32 v72, v48
	v_add_nc_u32_e32 v82, -1, v77
	v_fma_f32 v95, -v87, v79, v71
	v_sqrt_f32_e32 v78, v70
	v_fma_f32 v94, -v86, v79, v71
	v_fma_f32 v91, -v83, v77, v50
	s_delay_alu instid0(VALU_DEP_2) | instskip(NEXT) | instid1(TRANS32_DEP_2)
	v_cmp_ge_f32_e64 s6, 0, v94
	v_add_nc_u32_e32 v81, 1, v72
	s_delay_alu instid0(TRANS32_DEP_1)
	v_add_nc_u32_e32 v84, -1, v78
	v_add_nc_u32_e32 v85, 1, v78
	s_wait_alu 0xf1ff
	v_cndmask_b32_e64 v79, v79, v86, s6
	v_cmp_lt_f32_e64 s6, 0, v95
	v_fma_f32 v89, -v81, v72, v48
	v_fma_f32 v92, -v84, v78, v70
	v_fma_f32 v93, -v85, v78, v70
	s_wait_alu 0xf1ff
	v_cndmask_b32_e64 v79, v79, v87, s6
	v_add_nc_u32_e32 v80, -1, v72
	v_cmp_ge_f32_e64 s5, 0, v92
	v_cmp_lt_f32_e64 s7, 0, v89
	s_delay_alu instid0(VALU_DEP_3) | instskip(SKIP_1) | instid1(VALU_DEP_3)
	v_fma_f32 v88, -v80, v72, v48
	s_wait_alu 0xf1ff
	v_cndmask_b32_e64 v78, v78, v84, s5
	v_cmp_lt_f32_e64 s5, 0, v93
	s_delay_alu instid0(VALU_DEP_3) | instskip(SKIP_1) | instid1(VALU_DEP_2)
	v_cmp_ge_f32_e64 s4, 0, v88
	s_wait_alu 0xf1ff
	v_cndmask_b32_e64 v78, v78, v85, s5
	s_delay_alu instid0(VALU_DEP_2) | instskip(NEXT) | instid1(VALU_DEP_1)
	v_cndmask_b32_e64 v72, v72, v80, s4
	v_cndmask_b32_e64 v72, v72, v81, s7
	s_delay_alu instid0(VALU_DEP_1) | instskip(NEXT) | instid1(VALU_DEP_1)
	v_mul_f32_e32 v80, 0x37800000, v72
	v_cndmask_b32_e64 v72, v72, v80, s3
	v_cmp_class_f32_e64 s3, v48, 0x260
	s_wait_alu 0xf1ff
	s_delay_alu instid0(VALU_DEP_1)
	v_cndmask_b32_e64 v48, v72, v48, s3
	s_wait_loadcnt 0x0
	v_readfirstlane_b32 s5, v73
	v_mul_f32_e32 v73, v51, v76
	v_fma_f32 v90, -v82, v77, v50
	v_add_f32_e32 v72, v49, v74
	v_readfirstlane_b32 s35, v75
	s_cmp_eq_u32 s5, 0x46
	v_cmp_ge_f32_e64 s4, 0, v90
	v_sub_f32_e32 v76, v48, v72
	v_div_scale_f32 v74, null, v72, v72, 1.0
	s_wait_alu 0xf1ff
	s_delay_alu instid0(VALU_DEP_3) | instskip(SKIP_1) | instid1(VALU_DEP_3)
	v_cndmask_b32_e64 v77, v77, v82, s4
	v_cmp_lt_f32_e64 s4, 0, v91
	v_xor_b32_e32 v80, 0x80000000, v74
	v_rcp_f32_e32 v74, v74
	s_wait_alu 0xf1ff
	s_delay_alu instid0(VALU_DEP_2) | instskip(SKIP_1) | instid1(VALU_DEP_2)
	v_cndmask_b32_e64 v77, v77, v83, s4
	v_mul_f32_e32 v83, 0x37800000, v79
	v_mul_f32_e32 v81, 0x37800000, v77
	s_delay_alu instid0(VALU_DEP_2) | instskip(SKIP_1) | instid1(TRANS32_DEP_1)
	v_cndmask_b32_e64 v79, v79, v83, s1
	v_cmp_class_f32_e64 s1, v71, 0x260
	v_fma_f32 v93, v80, v74, 1.0
	s_delay_alu instid0(VALU_DEP_4) | instskip(SKIP_3) | instid1(VALU_DEP_1)
	v_cndmask_b32_e32 v77, v77, v81, vcc_lo
	v_cmp_class_f32_e64 vcc_lo, v50, 0x260
	s_wait_alu 0xf1ff
	v_cndmask_b32_e64 v71, v79, v71, s1
	v_dual_mul_f32 v82, 0x37800000, v78 :: v_dual_sub_f32 v79, v71, v72
	s_delay_alu instid0(VALU_DEP_1) | instskip(SKIP_1) | instid1(VALU_DEP_3)
	v_cndmask_b32_e64 v78, v78, v82, s0
	v_cmp_class_f32_e64 s0, v70, 0x260
	v_cmp_gt_f32_e64 s4, 0, v79
	s_wait_alu 0xf1ff
	s_delay_alu instid0(VALU_DEP_2)
	v_cndmask_b32_e64 v70, v78, v70, s0
	s_cselect_b32 s0, -1, 0
	s_wait_alu 0xfffe
	s_and_b32 s6, s0, s28
	v_cmp_gt_f32_e64 s0, 0, v76
	v_sub_f32_e32 v78, v70, v72
	s_wait_alu 0xfffe
	s_and_b32 s6, s6, exec_lo
	s_cselect_b32 s7, 0x3e800000, 0.5
	s_cselect_b32 s6, 4.0, 2.0
	s_cmp_eq_u32 s5, 0x45
	v_cmp_gt_f32_e64 s3, 0, v78
	s_wait_alu 0xfffe
	v_fma_f32 v89, -s7, v78, 1.0
	v_cmp_gt_f32_e64 s5, s6, v76
	v_fma_f32 v85, -s7, v76, 1.0
	v_fma_f32 v91, -s7, v79, 1.0
	s_wait_alu 0xf1ff
	v_cndmask_b32_e64 v83, 0, 0x42980000, s3
	v_cndmask_b32_e64 v89, v89, 1.0, s3
	s_wait_alu 0xfffd
	v_cndmask_b32_e32 v50, v77, v50, vcc_lo
	v_cndmask_b32_e64 v86, 0, 1.0, s5
	v_cndmask_b32_e64 v85, v85, 1.0, s0
	;; [unrolled: 1-line block ×3, first 2 shown]
	v_div_scale_f32 v75, vcc_lo, 1.0, v72, 1.0
	v_sub_f32_e32 v77, v50, v72
	s_delay_alu instid0(VALU_DEP_4) | instskip(SKIP_2) | instid1(VALU_DEP_3)
	v_dual_mul_f32 v85, v86, v85 :: v_dual_fmac_f32 v74, v93, v74
	s_cselect_b32 s8, -1, 0
	v_cndmask_b32_e64 v81, 0, 0x42980000, s0
	v_cmp_gt_f32_e64 s5, s6, v77
	v_cmp_gt_f32_e64 s1, 0, v77
	v_fma_f32 v87, -s7, v77, 1.0
	v_mul_f32_e32 v85, v73, v85
	v_cndmask_b32_e64 v84, 0, 0x42980000, s4
	s_wait_alu 0xf1ff
	v_cndmask_b32_e64 v88, 0, 1.0, s5
	v_cmp_gt_f32_e64 s5, s6, v78
	v_cndmask_b32_e64 v87, v87, 1.0, s1
	v_cndmask_b32_e64 v82, 0, 0x42980000, s1
	s_wait_alu 0xf1ff
	s_delay_alu instid0(VALU_DEP_3) | instskip(SKIP_1) | instid1(VALU_DEP_2)
	v_cndmask_b32_e64 v90, 0, 1.0, s5
	v_cmp_gt_f32_e64 s5, s6, v79
	v_dual_mul_f32 v86, v88, v87 :: v_dual_mul_f32 v87, v90, v89
	s_wait_alu 0xf1ff
	s_delay_alu instid0(VALU_DEP_2) | instskip(SKIP_1) | instid1(VALU_DEP_2)
	v_cndmask_b32_e64 v92, 0, 1.0, s5
	s_or_b32 s5, s8, s29
	v_mul_f32_e32 v86, v73, v86
	s_cmp_gt_f32 s35, 0
	v_mul_f32_e32 v87, v73, v87
	v_mul_f32_e32 v88, v92, v91
	s_wait_alu 0xfffe
	v_cndmask_b32_e64 v85, v85, -|v85|, s5
	s_cselect_b32 s36, -1, 0
	s_cmp_neq_f32 s35, 0
	v_cndmask_b32_e64 v87, v87, -|v87|, s5
	v_dual_mul_f32 v73, v73, v88 :: v_dual_mul_f32 v88, v75, v74
	s_cselect_b32 s37, -1, 0
	s_cmp_lt_f32 s35, 0
	v_cndmask_b32_e64 v86, v86, -|v86|, s5
	s_delay_alu instid0(VALU_DEP_2)
	v_cndmask_b32_e64 v73, v73, -|v73|, s5
	v_fma_f32 v89, v80, v88, v75
	s_cselect_b32 s5, -1, 0
	s_wait_alu 0xfffe
	s_and_b32 s6, s5, exec_lo
	s_cselect_b32 s38, s31, s33
	v_fmac_f32_e32 v88, v89, v74
	s_and_b32 s5, s5, s27
	s_xor_b32 s39, s35, 0x80000000
	s_wait_alu 0xfffe
	v_cmp_gt_f32_e64 s6, s38, v76
	s_and_b32 s5, s5, exec_lo
	v_fmac_f32_e32 v75, v80, v88
	v_div_scale_f32 v80, null, s38, s38, 1.0
	v_cmp_gt_f32_e64 s7, s38, v77
	s_cselect_b32 s35, s39, s35
	s_and_b32 s36, s36, s30
	s_wait_alu 0xfffd
	v_div_fmas_f32 v74, v75, v74, v88
	v_cmp_gt_f32_e64 s8, s38, v78
	s_and_b32 s36, s36, exec_lo
	s_cselect_b32 s36, s34, s26
	s_and_b32 s6, s37, s6
	v_cmp_gt_f32_e64 s9, s38, v79
	v_xor_b32_e32 v75, 0x80000000, v80
	v_rcp_f32_e32 v80, v80
	s_wait_alu 0xfffe
	v_cndmask_b32_e64 v88, 0, 1.0, s6
	s_and_b32 s6, s37, s7
	v_div_fixup_f32 v72, v74, v72, 1.0
	s_wait_alu 0xfffe
	v_cndmask_b32_e64 v90, 0, 1.0, s6
	s_and_b32 s6, s37, s8
	v_div_scale_f32 v89, s5, 1.0, s38, 1.0
	s_wait_alu 0xfffe
	v_cndmask_b32_e64 v91, 0, 1.0, s6
	s_and_b32 s6, s37, s9
	v_fma_f32 v50, -v72, v50, 1.0
	v_fma_f32 v70, -v72, v70, 1.0
	s_wait_alu 0xfffe
	v_cndmask_b32_e64 v92, 0, 1.0, s6
	s_add_f32 s6, s35, s36
	v_fma_f32 v48, -v72, v48, 1.0
	v_fma_f32 v71, -v72, v71, 1.0
	v_fma_f32 v72, v75, v80, 1.0
	s_wait_alu 0xfffe
	v_dual_mul_f32 v74, s6, v88 :: v_dual_fmac_f32 v57, v50, v82
	v_dual_fmac_f32 v55, v70, v83 :: v_dual_mul_f32 v88, s6, v90
	v_mul_f32_e32 v90, s6, v91
	s_mov_b32 vcc_lo, s5
	s_delay_alu instid0(VALU_DEP_3) | instskip(NEXT) | instid1(VALU_DEP_3)
	v_fmac_f32_e32 v57, 0x42340000, v86
	v_dual_fmac_f32 v55, 0x42340000, v87 :: v_dual_fmac_f32 v80, v72, v80
	v_fmac_f32_e32 v56, v48, v81
	v_fmac_f32_e32 v54, v71, v84
	v_mul_f32_e32 v91, s6, v92
	s_add_co_i32 s25, s25, -1
	v_mul_f32_e32 v48, v89, v80
	s_wait_alu 0xfffe
	s_cmp_lg_u32 s25, 0
	v_fmac_f32_e32 v54, 0x42340000, v73
	s_delay_alu instid0(VALU_DEP_2) | instskip(NEXT) | instid1(VALU_DEP_1)
	v_fma_f32 v50, v75, v48, v89
	v_fmac_f32_e32 v48, v50, v80
	s_delay_alu instid0(VALU_DEP_1) | instskip(NEXT) | instid1(VALU_DEP_1)
	v_fmac_f32_e32 v89, v75, v48
	v_div_fmas_f32 v48, v89, v80, v48
	s_delay_alu instid0(VALU_DEP_1) | instskip(NEXT) | instid1(VALU_DEP_1)
	v_div_fixup_f32 v48, v48, s38, 1.0
	v_fma_f32 v70, -v48, v77, 1.0
	v_fma_f32 v50, -v48, v76, 1.0
	;; [unrolled: 1-line block ×4, first 2 shown]
	s_delay_alu instid0(VALU_DEP_4) | instskip(NEXT) | instid1(VALU_DEP_4)
	v_cndmask_b32_e64 v70, v70, 1.0, s1
	v_cndmask_b32_e64 v50, v50, 1.0, s0
	s_delay_alu instid0(VALU_DEP_4) | instskip(NEXT) | instid1(VALU_DEP_4)
	v_cndmask_b32_e64 v71, v71, 1.0, s3
	v_cndmask_b32_e64 v48, v48, 1.0, s4
	s_delay_alu instid0(VALU_DEP_4) | instskip(NEXT) | instid1(VALU_DEP_2)
	v_dual_fmac_f32 v57, v70, v88 :: v_dual_fmac_f32 v56, 0x42340000, v85
	v_dual_fmac_f32 v55, v71, v90 :: v_dual_fmac_f32 v54, v48, v91
	s_delay_alu instid0(VALU_DEP_2)
	v_fmac_f32_e32 v56, v50, v74
	s_cbranch_scc1 .LBB2_28
; %bb.29:                               ;   in Loop: Header=BB2_27 Depth=1
	s_add_co_i32 s16, s16, 1
	s_wait_alu 0xfffe
	s_cmp_lg_u32 s16, s23
	s_cbranch_scc1 .LBB2_27
; %bb.30:
	s_and_saveexec_b32 s0, s2
	s_cbranch_execz .LBB2_32
; %bb.31:
	v_dual_mov_b32 v53, 0 :: v_dual_mul_f32 v8, 0.5, v56
	v_dual_mul_f32 v9, 0.5, v57 :: v_dual_mul_f32 v10, 0.5, v55
	v_mul_f32_e32 v11, 0.5, v54
	s_delay_alu instid0(VALU_DEP_3) | instskip(SKIP_1) | instid1(VALU_DEP_1)
	v_lshlrev_b64_e32 v[0:1], 2, v[52:53]
	v_add_nc_u32_e32 v52, s24, v52
	v_lshlrev_b64_e32 v[2:3], 2, v[52:53]
	v_add_nc_u32_e32 v52, s24, v52
	s_delay_alu instid0(VALU_DEP_4) | instskip(SKIP_2) | instid1(VALU_DEP_3)
	v_add_co_u32 v0, vcc_lo, s12, v0
	s_wait_alu 0xfffd
	v_add_co_ci_u32_e64 v1, null, s13, v1, vcc_lo
	v_lshlrev_b64_e32 v[4:5], 2, v[52:53]
	v_add_nc_u32_e32 v52, s24, v52
	v_add_co_u32 v2, vcc_lo, s12, v2
	s_wait_alu 0xfffd
	v_add_co_ci_u32_e64 v3, null, s13, v3, vcc_lo
	s_delay_alu instid0(VALU_DEP_3) | instskip(SKIP_3) | instid1(VALU_DEP_3)
	v_lshlrev_b64_e32 v[6:7], 2, v[52:53]
	v_add_co_u32 v4, vcc_lo, s12, v4
	s_wait_alu 0xfffd
	v_add_co_ci_u32_e64 v5, null, s13, v5, vcc_lo
	v_add_co_u32 v6, vcc_lo, s12, v6
	s_wait_alu 0xfffd
	v_add_co_ci_u32_e64 v7, null, s13, v7, vcc_lo
	s_clause 0x3
	global_store_b32 v[0:1], v8, off
	global_store_b32 v[2:3], v9, off
	;; [unrolled: 1-line block ×4, first 2 shown]
.LBB2_32:
	s_endpgm
	.section	.rodata,"a",@progbits
	.p2align	6, 0x0
	.amdhsa_kernel _ZL11fasten_mainILm4EEviiPK4AtomS2_PKfS4_S4_S4_S4_S4_PfPK8FFParamsi
		.amdhsa_group_segment_fixed_size 0
		.amdhsa_private_segment_fixed_size 208
		.amdhsa_kernarg_size 352
		.amdhsa_user_sgpr_count 2
		.amdhsa_user_sgpr_dispatch_ptr 0
		.amdhsa_user_sgpr_queue_ptr 0
		.amdhsa_user_sgpr_kernarg_segment_ptr 1
		.amdhsa_user_sgpr_dispatch_id 0
		.amdhsa_user_sgpr_private_segment_size 0
		.amdhsa_wavefront_size32 1
		.amdhsa_uses_dynamic_stack 0
		.amdhsa_enable_private_segment 1
		.amdhsa_system_sgpr_workgroup_id_x 1
		.amdhsa_system_sgpr_workgroup_id_y 0
		.amdhsa_system_sgpr_workgroup_id_z 0
		.amdhsa_system_sgpr_workgroup_info 0
		.amdhsa_system_vgpr_workitem_id 0
		.amdhsa_next_free_vgpr 96
		.amdhsa_next_free_sgpr 40
		.amdhsa_reserve_vcc 1
		.amdhsa_float_round_mode_32 0
		.amdhsa_float_round_mode_16_64 0
		.amdhsa_float_denorm_mode_32 3
		.amdhsa_float_denorm_mode_16_64 3
		.amdhsa_fp16_overflow 0
		.amdhsa_workgroup_processor_mode 1
		.amdhsa_memory_ordered 1
		.amdhsa_forward_progress 1
		.amdhsa_inst_pref_size 67
		.amdhsa_round_robin_scheduling 0
		.amdhsa_exception_fp_ieee_invalid_op 0
		.amdhsa_exception_fp_denorm_src 0
		.amdhsa_exception_fp_ieee_div_zero 0
		.amdhsa_exception_fp_ieee_overflow 0
		.amdhsa_exception_fp_ieee_underflow 0
		.amdhsa_exception_fp_ieee_inexact 0
		.amdhsa_exception_int_div_zero 0
	.end_amdhsa_kernel
	.section	.text._ZL11fasten_mainILm4EEviiPK4AtomS2_PKfS4_S4_S4_S4_S4_PfPK8FFParamsi,"axG",@progbits,_ZL11fasten_mainILm4EEviiPK4AtomS2_PKfS4_S4_S4_S4_S4_PfPK8FFParamsi,comdat
.Lfunc_end2:
	.size	_ZL11fasten_mainILm4EEviiPK4AtomS2_PKfS4_S4_S4_S4_S4_PfPK8FFParamsi, .Lfunc_end2-_ZL11fasten_mainILm4EEviiPK4AtomS2_PKfS4_S4_S4_S4_S4_PfPK8FFParamsi
                                        ; -- End function
	.set _ZL11fasten_mainILm4EEviiPK4AtomS2_PKfS4_S4_S4_S4_S4_PfPK8FFParamsi.num_vgpr, 96
	.set _ZL11fasten_mainILm4EEviiPK4AtomS2_PKfS4_S4_S4_S4_S4_PfPK8FFParamsi.num_agpr, 0
	.set _ZL11fasten_mainILm4EEviiPK4AtomS2_PKfS4_S4_S4_S4_S4_PfPK8FFParamsi.numbered_sgpr, 40
	.set _ZL11fasten_mainILm4EEviiPK4AtomS2_PKfS4_S4_S4_S4_S4_PfPK8FFParamsi.num_named_barrier, 0
	.set _ZL11fasten_mainILm4EEviiPK4AtomS2_PKfS4_S4_S4_S4_S4_PfPK8FFParamsi.private_seg_size, 208
	.set _ZL11fasten_mainILm4EEviiPK4AtomS2_PKfS4_S4_S4_S4_S4_PfPK8FFParamsi.uses_vcc, 1
	.set _ZL11fasten_mainILm4EEviiPK4AtomS2_PKfS4_S4_S4_S4_S4_PfPK8FFParamsi.uses_flat_scratch, 1
	.set _ZL11fasten_mainILm4EEviiPK4AtomS2_PKfS4_S4_S4_S4_S4_PfPK8FFParamsi.has_dyn_sized_stack, 0
	.set _ZL11fasten_mainILm4EEviiPK4AtomS2_PKfS4_S4_S4_S4_S4_PfPK8FFParamsi.has_recursion, 0
	.set _ZL11fasten_mainILm4EEviiPK4AtomS2_PKfS4_S4_S4_S4_S4_PfPK8FFParamsi.has_indirect_call, 0
	.section	.AMDGPU.csdata,"",@progbits
; Kernel info:
; codeLenInByte = 8460
; TotalNumSgprs: 42
; NumVgprs: 96
; ScratchSize: 208
; MemoryBound: 0
; FloatMode: 240
; IeeeMode: 1
; LDSByteSize: 0 bytes/workgroup (compile time only)
; SGPRBlocks: 0
; VGPRBlocks: 11
; NumSGPRsForWavesPerEU: 42
; NumVGPRsForWavesPerEU: 96
; Occupancy: 16
; WaveLimiterHint : 1
; COMPUTE_PGM_RSRC2:SCRATCH_EN: 1
; COMPUTE_PGM_RSRC2:USER_SGPR: 2
; COMPUTE_PGM_RSRC2:TRAP_HANDLER: 0
; COMPUTE_PGM_RSRC2:TGID_X_EN: 1
; COMPUTE_PGM_RSRC2:TGID_Y_EN: 0
; COMPUTE_PGM_RSRC2:TGID_Z_EN: 0
; COMPUTE_PGM_RSRC2:TIDIG_COMP_CNT: 0
	.section	.text._ZL11fasten_mainILm8EEviiPK4AtomS2_PKfS4_S4_S4_S4_S4_PfPK8FFParamsi,"axG",@progbits,_ZL11fasten_mainILm8EEviiPK4AtomS2_PKfS4_S4_S4_S4_S4_PfPK8FFParamsi,comdat
	.globl	_ZL11fasten_mainILm8EEviiPK4AtomS2_PKfS4_S4_S4_S4_S4_PfPK8FFParamsi ; -- Begin function _ZL11fasten_mainILm8EEviiPK4AtomS2_PKfS4_S4_S4_S4_S4_PfPK8FFParamsi
	.p2align	8
	.type	_ZL11fasten_mainILm8EEviiPK4AtomS2_PKfS4_S4_S4_S4_S4_PfPK8FFParamsi,@function
_ZL11fasten_mainILm8EEviiPK4AtomS2_PKfS4_S4_S4_S4_S4_PfPK8FFParamsi: ; @_ZL11fasten_mainILm8EEviiPK4AtomS2_PKfS4_S4_S4_S4_S4_PfPK8FFParamsi
; %bb.0:
	s_clause 0x2
	s_load_b32 s2, s[0:1], 0x6c
	s_load_b32 s3, s[0:1], 0x58
	s_load_b512 s[36:51], s[0:1], 0x8
	v_mov_b32_e32 v3, 0
	s_mov_b32 s5, 0
	s_mov_b32 s7, 0
	;; [unrolled: 1-line block ×5, first 2 shown]
	s_wait_kmcnt 0x0
	s_and_b32 s33, s2, 0xffff
	s_add_co_i32 s4, s3, -8
	s_mul_i32 s2, ttmp9, s33
	s_lshl_b32 s6, s33, 2
	v_lshl_add_u32 v116, s2, 3, v0
	s_delay_alu instid0(VALU_DEP_1) | instskip(SKIP_1) | instid1(VALU_DEP_1)
	v_cmp_gt_i32_e64 s2, s3, v116
	s_wait_alu 0xf1ff
	v_cndmask_b32_e64 v0, s4, v116, s2
	s_delay_alu instid0(VALU_DEP_1) | instskip(NEXT) | instid1(VALU_DEP_1)
	v_ashrrev_i32_e32 v1, 31, v0
	v_lshlrev_b64_e32 v[0:1], 2, v[0:1]
	s_branch .LBB3_2
.LBB3_1:                                ;   in Loop: Header=BB3_2 Depth=1
	s_wait_alu 0xfffe
	s_or_b32 exec_lo, exec_lo, s3
	v_add_co_u32 v20, vcc_lo, s46, v0
	s_wait_alu 0xfffd
	v_add_co_ci_u32_e64 v21, null, s47, v1, vcc_lo
	v_add_co_u32 v23, vcc_lo, s48, v0
	s_wait_alu 0xfffd
	v_add_co_ci_u32_e64 v24, null, s49, v1, vcc_lo
	;; [unrolled: 3-line block ×3, first 2 shown]
	global_load_b32 v20, v[20:21], off
	global_load_b32 v24, v[23:24], off
	global_load_b32 v28, v[25:26], off
	v_dual_mul_f32 v34, v2, v2 :: v_dual_and_b32 v29, 1, v13
	v_dual_mul_f32 v30, v8, v8 :: v_dual_and_b32 v23, 1, v19
	v_dual_mul_f32 v32, v6, v6 :: v_dual_lshlrev_b32 v19, 30, v19
	v_mul_f32_e32 v25, v14, v14
	s_delay_alu instid0(VALU_DEP_4)
	v_fmaak_f32 v46, s9, v34, 0x3c0881c4
	v_dual_mul_f32 v21, v18, v18 :: v_dual_and_b32 v26, 1, v16
	v_lshlrev_b32_e32 v16, 30, v16
	v_mul_f32_e32 v27, v12, v12
	v_dual_fmaak_f32 v38, s9, v25, 0x3c0881c4 :: v_dual_and_b32 v33, 1, v7
	v_dual_fmaak_f32 v44, s9, v32, 0x3c0881c4 :: v_dual_and_b32 v35, 1, v22
	v_fmaak_f32 v46, v34, v46, 0xbe2aaa9d
	v_fmaak_f32 v45, s10, v32, 0xbab64f3b
	v_dual_fmaak_f32 v36, s9, v21, 0x3c0881c4 :: v_dual_and_b32 v31, 1, v10
	v_lshlrev_b32_e32 v10, 30, v10
	v_dual_fmaak_f32 v40, s9, v27, 0x3c0881c4 :: v_dual_lshlrev_b32 v13, 30, v13
	v_dual_fmaak_f32 v42, s9, v30, 0x3c0881c4 :: v_dual_lshlrev_b32 v7, 30, v7
	;; [unrolled: 1-line block ×3, first 2 shown]
	v_fmaak_f32 v38, v25, v38, 0xbe2aaa9d
	v_fmaak_f32 v44, v32, v44, 0xbe2aaa9d
	v_dual_mul_f32 v46, v34, v46 :: v_dual_fmaak_f32 v45, v32, v45, 0x3d2aabf7
	s_delay_alu instid0(VALU_DEP_3) | instskip(NEXT) | instid1(VALU_DEP_3)
	v_dual_fmaak_f32 v39, s10, v25, 0xbab64f3b :: v_dual_mul_f32 v38, v25, v38
	v_dual_fmaak_f32 v43, s10, v30, 0xbab64f3b :: v_dual_mul_f32 v44, v32, v44
	v_fmaak_f32 v36, v21, v36, 0xbe2aaa9d
	s_delay_alu instid0(VALU_DEP_3)
	v_dual_fmaak_f32 v37, v21, v37, 0x3d2aabf7 :: v_dual_fmac_f32 v14, v14, v38
	v_fmaak_f32 v40, v27, v40, 0xbe2aaa9d
	v_fmaak_f32 v41, s10, v27, 0xbab64f3b
	;; [unrolled: 1-line block ×3, first 2 shown]
	v_dual_fmac_f32 v2, v2, v46 :: v_dual_fmaak_f32 v45, v32, v45, 0xbf000004
	v_dual_mul_f32 v36, v21, v36 :: v_dual_and_b32 v19, 0x80000000, v19
	s_delay_alu instid0(VALU_DEP_3)
	v_dual_mul_f32 v42, v30, v42 :: v_dual_and_b32 v13, 0x80000000, v13
	v_dual_fmaak_f32 v39, v25, v39, 0x3d2aabf7 :: v_dual_mul_f32 v40, v27, v40
	v_dual_fmaak_f32 v41, v27, v41, 0x3d2aabf7 :: v_dual_fmac_f32 v6, v6, v44
	v_fma_f32 v32, v32, v45, 1.0
	v_fmaak_f32 v37, v21, v37, 0xbf000004
	v_dual_fmac_f32 v18, v18, v36 :: v_dual_and_b32 v7, 0x80000000, v7
	v_dual_fmac_f32 v8, v8, v42 :: v_dual_fmaak_f32 v39, v25, v39, 0xbf000004
	s_delay_alu instid0(VALU_DEP_3)
	v_fma_f32 v21, v21, v37, 1.0
	v_cmp_eq_u32_e32 vcc_lo, 0, v23
	v_fmaak_f32 v43, v30, v43, 0x3d2aabf7
	v_fmaak_f32 v41, v27, v41, 0xbf000004
	v_fma_f32 v25, v25, v39, 1.0
	v_dual_fmaak_f32 v47, s10, v34, 0xbab64f3b :: v_dual_fmac_f32 v12, v12, v40
	s_wait_alu 0xfffd
	v_cndmask_b32_e32 v18, v21, v18, vcc_lo
	v_cmp_eq_u32_e32 vcc_lo, 0, v26
	v_fmaak_f32 v43, v30, v43, 0xbf000004
	v_fma_f32 v27, v27, v41, 1.0
	v_xor_b32_e32 v5, v5, v4
	v_cmp_class_f32_e64 s3, v4, 0x1f8
	s_wait_alu 0xfffd
	v_cndmask_b32_e64 v14, -v14, v25, vcc_lo
	v_cmp_eq_u32_e32 vcc_lo, 0, v29
	v_fmaak_f32 v47, v34, v47, 0x3d2aabf7
	v_fma_f32 v30, v30, v43, 1.0
	v_xor_b32_e32 v17, v17, v15
	v_xor_b32_e32 v11, v11, v9
	s_wait_alu 0xfffd
	v_cndmask_b32_e32 v12, v27, v12, vcc_lo
	v_cmp_eq_u32_e32 vcc_lo, 0, v31
	v_cmp_class_f32_e64 s4, v15, 0x1f8
	v_xor3_b32 v17, v17, v19, v18
	s_add_co_i32 s11, s5, 32
	s_add_co_i32 s5, s5, 48
	s_wait_alu 0xfffd
	v_cndmask_b32_e64 v8, -v8, v30, vcc_lo
	v_cmp_eq_u32_e32 vcc_lo, 0, v33
	scratch_store_b32 off, v3, s7
	s_add_co_i32 s7, s7, 4
	s_wait_alu 0xfffe
	s_cmp_lg_u32 s5, 0x180
	s_wait_alu 0xfffd
	v_cndmask_b32_e32 v6, v32, v6, vcc_lo
	v_cmp_eq_u32_e32 vcc_lo, 0, v35
	s_delay_alu instid0(VALU_DEP_2) | instskip(SKIP_2) | instid1(VALU_DEP_3)
	v_xor3_b32 v4, v5, v7, v6
	v_cndmask_b32_e64 v5, 0x7fc00000, v17, s4
	v_and_b32_e32 v22, 0x80000000, v22
	v_cndmask_b32_e64 v4, 0x7fc00000, v4, s3
	v_fmaak_f32 v47, v34, v47, 0xbf000004
	s_delay_alu instid0(VALU_DEP_1) | instskip(SKIP_1) | instid1(VALU_DEP_1)
	v_fma_f32 v34, v34, v47, 1.0
	s_wait_alu 0xfffd
	v_cndmask_b32_e64 v2, -v2, v34, vcc_lo
	v_cmp_class_f32_e64 vcc_lo, v9, 0x1f8
	v_xor3_b32 v9, v11, v13, v12
	s_delay_alu instid0(VALU_DEP_3) | instskip(SKIP_1) | instid1(VALU_DEP_2)
	v_xor_b32_e32 v2, v22, v2
	s_wait_alu 0xfffd
	v_cndmask_b32_e32 v7, 0x7fc00000, v9, vcc_lo
	v_and_b32_e32 v10, 0x80000000, v10
	s_delay_alu instid0(VALU_DEP_3) | instskip(NEXT) | instid1(VALU_DEP_3)
	v_cndmask_b32_e64 v2, 0x7fc00000, v2, s4
	v_dual_mul_f32 v9, v4, v7 :: v_dual_and_b32 v16, 0x80000000, v16
	s_delay_alu instid0(VALU_DEP_3) | instskip(SKIP_1) | instid1(VALU_DEP_4)
	v_xor_b32_e32 v8, v10, v8
	v_xor_b32_e32 v25, 0x80000000, v7
	v_mul_f32_e32 v12, v4, v2
	s_delay_alu instid0(VALU_DEP_4) | instskip(NEXT) | instid1(VALU_DEP_4)
	v_xor_b32_e32 v14, v16, v14
	v_cndmask_b32_e64 v8, 0x7fc00000, v8, s3
	s_delay_alu instid0(VALU_DEP_2) | instskip(SKIP_1) | instid1(VALU_DEP_3)
	v_cndmask_b32_e32 v6, 0x7fc00000, v14, vcc_lo
	v_add_co_u32 v0, vcc_lo, v0, s6
	v_mul_f32_e32 v10, v8, v7
	v_mul_f32_e32 v11, v8, v5
	;; [unrolled: 1-line block ×3, first 2 shown]
	s_wait_alu 0xfffd
	v_add_co_ci_u32_e64 v1, null, 0, v1, vcc_lo
	v_mul_f32_e32 v19, v10, v2
	v_mul_f32_e32 v17, v6, v2
	v_fma_f32 v18, v9, v2, -v11
	v_mul_f32_e32 v21, v6, v5
	v_fmac_f32_e32 v22, v9, v5
	v_fmac_f32_e32 v19, v4, v5
	v_fma_f32 v23, v10, v5, -v12
	v_mul_f32_e32 v26, v4, v6
	v_mul_f32_e32 v27, v8, v6
	s_wait_loadcnt 0x2
	scratch_store_b128 off, v[17:20], s11
	s_wait_loadcnt 0x1
	scratch_store_b128 off, v[21:24], s11 offset:16
	s_wait_loadcnt 0x0
	scratch_store_b128 off, v[25:28], s11 offset:32
	s_cbranch_scc0 .LBB3_26
.LBB3_2:                                ; =>This Inner Loop Header: Depth=1
	s_delay_alu instid0(VALU_DEP_1) | instskip(SKIP_1) | instid1(VALU_DEP_2)
	v_add_co_u32 v4, vcc_lo, s40, v0
	s_wait_alu 0xfffd
	v_add_co_ci_u32_e64 v5, null, s41, v1, vcc_lo
                                        ; implicit-def: $vgpr7
                                        ; implicit-def: $vgpr6
	global_load_b32 v4, v[4:5], off
	s_wait_loadcnt 0x0
	v_and_b32_e32 v5, 0x7fffffff, v4
	v_cmp_ngt_f32_e64 s11, 0x48000000, |v4|
	s_delay_alu instid0(VALU_DEP_2) | instskip(SKIP_1) | instid1(VALU_DEP_2)
	v_lshrrev_b32_e32 v2, 23, v5
	v_and_or_b32 v9, v5, s8, 0x800000
	v_add_nc_u32_e32 v11, 0xffffff88, v2
	s_wait_alu 0xfffe
	s_and_saveexec_b32 s3, s11
	s_wait_alu 0xfffe
	s_xor_b32 s12, exec_lo, s3
	s_cbranch_execz .LBB3_4
; %bb.3:                                ;   in Loop: Header=BB3_2 Depth=1
	v_mad_co_u64_u32 v[6:7], null, 0xfe5163ab, v9, 0
	v_cmp_lt_u32_e32 vcc_lo, 63, v11
	s_delay_alu instid0(VALU_DEP_2) | instskip(NEXT) | instid1(VALU_DEP_1)
	v_mov_b32_e32 v2, v7
	v_mad_co_u64_u32 v[7:8], null, 0x3c439041, v9, v[2:3]
	s_delay_alu instid0(VALU_DEP_1) | instskip(SKIP_2) | instid1(VALU_DEP_2)
	v_mov_b32_e32 v2, v8
	s_wait_alu 0xfffd
	v_cndmask_b32_e64 v8, 0, 0xffffffc0, vcc_lo
	v_mad_co_u64_u32 v[12:13], null, 0xdb629599, v9, v[2:3]
	s_delay_alu instid0(VALU_DEP_2) | instskip(NEXT) | instid1(VALU_DEP_1)
	v_add_nc_u32_e32 v8, v8, v11
	v_cmp_lt_u32_e64 s3, 31, v8
	s_delay_alu instid0(VALU_DEP_3) | instskip(NEXT) | instid1(VALU_DEP_4)
	v_mov_b32_e32 v2, v13
	v_cndmask_b32_e32 v6, v12, v6, vcc_lo
	s_wait_alu 0xf1ff
	s_delay_alu instid0(VALU_DEP_3) | instskip(NEXT) | instid1(VALU_DEP_3)
	v_cndmask_b32_e64 v10, 0, 0xffffffe0, s3
	v_mad_co_u64_u32 v[13:14], null, 0xf534ddc0, v9, v[2:3]
	s_delay_alu instid0(VALU_DEP_2) | instskip(NEXT) | instid1(VALU_DEP_2)
	v_add_nc_u32_e32 v8, v10, v8
	v_mov_b32_e32 v2, v14
	s_delay_alu instid0(VALU_DEP_2) | instskip(NEXT) | instid1(VALU_DEP_4)
	v_cmp_lt_u32_e64 s4, 31, v8
	v_cndmask_b32_e32 v7, v13, v7, vcc_lo
	s_delay_alu instid0(VALU_DEP_3) | instskip(NEXT) | instid1(VALU_DEP_2)
	v_mad_co_u64_u32 v[14:15], null, 0xfc2757d1, v9, v[2:3]
	v_cndmask_b32_e64 v6, v7, v6, s3
	s_delay_alu instid0(VALU_DEP_2) | instskip(NEXT) | instid1(VALU_DEP_1)
	v_mov_b32_e32 v2, v15
	v_mad_co_u64_u32 v[15:16], null, 0x4e441529, v9, v[2:3]
	s_delay_alu instid0(VALU_DEP_1) | instskip(NEXT) | instid1(VALU_DEP_2)
	v_mov_b32_e32 v2, v16
	v_cndmask_b32_e32 v10, v15, v13, vcc_lo
	s_delay_alu instid0(VALU_DEP_2) | instskip(SKIP_2) | instid1(VALU_DEP_1)
	v_mad_co_u64_u32 v[16:17], null, 0xa2f9836e, v9, v[2:3]
	s_wait_alu 0xf1ff
	v_cndmask_b32_e64 v2, 0, 0xffffffe0, s4
	v_add_nc_u32_e32 v2, v2, v8
	s_delay_alu instid0(VALU_DEP_3) | instskip(SKIP_1) | instid1(VALU_DEP_3)
	v_dual_cndmask_b32 v16, v16, v14 :: v_dual_cndmask_b32 v15, v17, v15
	v_cndmask_b32_e32 v14, v14, v12, vcc_lo
	v_cmp_eq_u32_e32 vcc_lo, 0, v2
	s_delay_alu instid0(VALU_DEP_3) | instskip(NEXT) | instid1(VALU_DEP_4)
	v_cndmask_b32_e64 v8, v16, v10, s3
	v_cndmask_b32_e64 v13, v15, v16, s3
	s_delay_alu instid0(VALU_DEP_4) | instskip(SKIP_2) | instid1(VALU_DEP_4)
	v_cndmask_b32_e64 v10, v10, v14, s3
	v_sub_nc_u32_e32 v15, 32, v2
	v_cndmask_b32_e64 v14, v14, v7, s3
	v_cndmask_b32_e64 v13, v13, v8, s4
	s_delay_alu instid0(VALU_DEP_4) | instskip(NEXT) | instid1(VALU_DEP_3)
	v_cndmask_b32_e64 v8, v8, v10, s4
	v_cndmask_b32_e64 v10, v10, v14, s4
	;; [unrolled: 1-line block ×3, first 2 shown]
	s_delay_alu instid0(VALU_DEP_3) | instskip(NEXT) | instid1(VALU_DEP_3)
	v_alignbit_b32 v16, v13, v8, v15
	v_alignbit_b32 v12, v8, v10, v15
	s_delay_alu instid0(VALU_DEP_3) | instskip(SKIP_1) | instid1(VALU_DEP_3)
	v_alignbit_b32 v14, v10, v6, v15
	s_wait_alu 0xfffd
	v_cndmask_b32_e32 v2, v16, v13, vcc_lo
	s_delay_alu instid0(VALU_DEP_2) | instskip(NEXT) | instid1(VALU_DEP_2)
	v_dual_cndmask_b32 v7, v12, v8 :: v_dual_cndmask_b32 v10, v14, v10
	v_bfe_u32 v8, v2, 29, 1
	s_delay_alu instid0(VALU_DEP_2) | instskip(NEXT) | instid1(VALU_DEP_3)
	v_alignbit_b32 v12, v2, v7, 30
	v_alignbit_b32 v7, v7, v10, 30
	;; [unrolled: 1-line block ×3, first 2 shown]
	s_delay_alu instid0(VALU_DEP_4) | instskip(NEXT) | instid1(VALU_DEP_1)
	v_sub_nc_u32_e32 v13, 0, v8
	v_xor_b32_e32 v12, v12, v13
	s_delay_alu instid0(VALU_DEP_4) | instskip(NEXT) | instid1(VALU_DEP_4)
	v_xor_b32_e32 v7, v7, v13
	v_xor_b32_e32 v6, v6, v13
	v_lshrrev_b32_e32 v13, 29, v2
	v_lshrrev_b32_e32 v2, 30, v2
	v_clz_i32_u32_e32 v14, v12
	s_delay_alu instid0(VALU_DEP_1) | instskip(NEXT) | instid1(VALU_DEP_1)
	v_min_u32_e32 v14, 32, v14
	v_sub_nc_u32_e32 v10, 31, v14
	v_lshlrev_b32_e32 v15, 23, v14
	s_delay_alu instid0(VALU_DEP_2) | instskip(SKIP_2) | instid1(VALU_DEP_2)
	v_alignbit_b32 v12, v12, v7, v10
	v_alignbit_b32 v6, v7, v6, v10
	v_lshlrev_b32_e32 v7, 31, v13
	v_alignbit_b32 v10, v12, v6, 9
	s_delay_alu instid0(VALU_DEP_2) | instskip(SKIP_2) | instid1(VALU_DEP_4)
	v_or_b32_e32 v13, 0.5, v7
	v_lshrrev_b32_e32 v12, 9, v12
	v_or_b32_e32 v7, 0x33000000, v7
	v_clz_i32_u32_e32 v16, v10
	s_delay_alu instid0(VALU_DEP_4) | instskip(NEXT) | instid1(VALU_DEP_2)
	v_sub_nc_u32_e32 v13, v13, v15
	v_min_u32_e32 v15, 32, v16
	s_delay_alu instid0(VALU_DEP_2) | instskip(NEXT) | instid1(VALU_DEP_2)
	v_or_b32_e32 v12, v12, v13
	v_not_b32_e32 v13, v15
	s_delay_alu instid0(VALU_DEP_2) | instskip(SKIP_1) | instid1(VALU_DEP_3)
	v_mul_f32_e32 v16, 0x3fc90fda, v12
	v_add_lshl_u32 v14, v15, v14, 23
	v_alignbit_b32 v6, v10, v6, v13
	s_delay_alu instid0(VALU_DEP_3) | instskip(NEXT) | instid1(VALU_DEP_3)
	v_fma_f32 v10, 0x3fc90fda, v12, -v16
	v_sub_nc_u32_e32 v7, v7, v14
	s_delay_alu instid0(VALU_DEP_3) | instskip(NEXT) | instid1(VALU_DEP_3)
	v_lshrrev_b32_e32 v6, 9, v6
	v_fmac_f32_e32 v10, 0x33a22168, v12
	s_delay_alu instid0(VALU_DEP_2) | instskip(SKIP_1) | instid1(VALU_DEP_2)
	v_or_b32_e32 v6, v7, v6
	v_add_nc_u32_e32 v7, v8, v2
	v_fmac_f32_e32 v10, 0x3fc90fda, v6
	s_delay_alu instid0(VALU_DEP_1)
	v_add_f32_e32 v6, v16, v10
.LBB3_4:                                ;   in Loop: Header=BB3_2 Depth=1
	s_or_saveexec_b32 s3, s12
	v_mul_f32_e64 v2, 0x3f22f983, |v4|
	s_delay_alu instid0(VALU_DEP_1)
	v_rndne_f32_e32 v2, v2
	s_wait_alu 0xfffe
	s_xor_b32 exec_lo, exec_lo, s3
; %bb.5:                                ;   in Loop: Header=BB3_2 Depth=1
	s_delay_alu instid0(VALU_DEP_1) | instskip(SKIP_1) | instid1(VALU_DEP_2)
	v_fma_f32 v6, 0xbfc90fda, v2, |v4|
	v_cvt_i32_f32_e32 v7, v2
	v_fmac_f32_e32 v6, 0xb3a22168, v2
	s_delay_alu instid0(VALU_DEP_1)
	v_fmac_f32_e32 v6, 0xa7c234c4, v2
; %bb.6:                                ;   in Loop: Header=BB3_2 Depth=1
	s_or_b32 exec_lo, exec_lo, s3
                                        ; implicit-def: $vgpr10
                                        ; implicit-def: $vgpr8
	s_and_saveexec_b32 s3, s11
	s_wait_alu 0xfffe
	s_xor_b32 s11, exec_lo, s3
	s_cbranch_execz .LBB3_8
; %bb.7:                                ;   in Loop: Header=BB3_2 Depth=1
	v_mad_co_u64_u32 v[12:13], null, 0xfe5163ab, v9, 0
	v_cmp_lt_u32_e32 vcc_lo, 63, v11
	s_wait_alu 0xfffd
	v_cndmask_b32_e64 v8, 0, 0xffffffc0, vcc_lo
	s_delay_alu instid0(VALU_DEP_3) | instskip(NEXT) | instid1(VALU_DEP_2)
	v_mov_b32_e32 v2, v13
	v_add_nc_u32_e32 v8, v8, v11
	s_delay_alu instid0(VALU_DEP_2) | instskip(NEXT) | instid1(VALU_DEP_2)
	v_mad_co_u64_u32 v[13:14], null, 0x3c439041, v9, v[2:3]
	v_cmp_lt_u32_e64 s3, 31, v8
	s_delay_alu instid0(VALU_DEP_2) | instskip(NEXT) | instid1(VALU_DEP_1)
	v_mov_b32_e32 v2, v14
	v_mad_co_u64_u32 v[14:15], null, 0xdb629599, v9, v[2:3]
	s_delay_alu instid0(VALU_DEP_1) | instskip(NEXT) | instid1(VALU_DEP_2)
	v_mov_b32_e32 v2, v15
	v_cndmask_b32_e32 v12, v14, v12, vcc_lo
	s_delay_alu instid0(VALU_DEP_2) | instskip(NEXT) | instid1(VALU_DEP_1)
	v_mad_co_u64_u32 v[15:16], null, 0xf534ddc0, v9, v[2:3]
	v_mov_b32_e32 v2, v16
	s_delay_alu instid0(VALU_DEP_1) | instskip(NEXT) | instid1(VALU_DEP_1)
	v_mad_co_u64_u32 v[16:17], null, 0xfc2757d1, v9, v[2:3]
	v_mov_b32_e32 v2, v17
	s_wait_alu 0xf1ff
	v_cndmask_b32_e64 v17, 0, 0xffffffe0, s3
	s_delay_alu instid0(VALU_DEP_2) | instskip(NEXT) | instid1(VALU_DEP_1)
	v_mad_co_u64_u32 v[10:11], null, 0x4e441529, v9, v[2:3]
	v_dual_mov_b32 v2, v11 :: v_dual_add_nc_u32 v11, v17, v8
	s_delay_alu instid0(VALU_DEP_2) | instskip(NEXT) | instid1(VALU_DEP_2)
	v_cndmask_b32_e32 v17, v10, v15, vcc_lo
	v_mad_co_u64_u32 v[8:9], null, 0xa2f9836e, v9, v[2:3]
	s_delay_alu instid0(VALU_DEP_3) | instskip(SKIP_1) | instid1(VALU_DEP_1)
	v_cmp_lt_u32_e64 s4, 31, v11
	s_wait_alu 0xf1ff
	v_cndmask_b32_e64 v2, 0, 0xffffffe0, s4
	s_delay_alu instid0(VALU_DEP_3) | instskip(SKIP_1) | instid1(VALU_DEP_3)
	v_dual_cndmask_b32 v8, v8, v16 :: v_dual_cndmask_b32 v9, v9, v10
	v_cndmask_b32_e32 v10, v16, v14, vcc_lo
	v_dual_cndmask_b32 v11, v15, v13 :: v_dual_add_nc_u32 v2, v2, v11
	s_delay_alu instid0(VALU_DEP_3) | instskip(NEXT) | instid1(VALU_DEP_4)
	v_cndmask_b32_e64 v13, v8, v17, s3
	v_cndmask_b32_e64 v8, v9, v8, s3
	s_delay_alu instid0(VALU_DEP_4) | instskip(NEXT) | instid1(VALU_DEP_4)
	v_cndmask_b32_e64 v9, v17, v10, s3
	v_sub_nc_u32_e32 v15, 32, v2
	v_cndmask_b32_e64 v10, v10, v11, s3
	v_cmp_eq_u32_e32 vcc_lo, 0, v2
	v_cndmask_b32_e64 v8, v8, v13, s4
	v_cndmask_b32_e64 v13, v13, v9, s4
	s_delay_alu instid0(VALU_DEP_4) | instskip(NEXT) | instid1(VALU_DEP_2)
	v_cndmask_b32_e64 v9, v9, v10, s4
	v_alignbit_b32 v16, v8, v13, v15
	s_delay_alu instid0(VALU_DEP_2) | instskip(SKIP_1) | instid1(VALU_DEP_2)
	v_alignbit_b32 v14, v13, v9, v15
	s_wait_alu 0xfffd
	v_cndmask_b32_e32 v2, v16, v8, vcc_lo
	v_cndmask_b32_e64 v8, v11, v12, s3
	s_delay_alu instid0(VALU_DEP_3) | instskip(NEXT) | instid1(VALU_DEP_3)
	v_cndmask_b32_e32 v11, v14, v13, vcc_lo
	v_bfe_u32 v12, v2, 29, 1
	s_delay_alu instid0(VALU_DEP_3) | instskip(NEXT) | instid1(VALU_DEP_3)
	v_cndmask_b32_e64 v8, v10, v8, s4
	v_alignbit_b32 v10, v2, v11, 30
	s_delay_alu instid0(VALU_DEP_3) | instskip(NEXT) | instid1(VALU_DEP_3)
	v_sub_nc_u32_e32 v13, 0, v12
	v_alignbit_b32 v14, v9, v8, v15
	s_delay_alu instid0(VALU_DEP_2) | instskip(NEXT) | instid1(VALU_DEP_2)
	v_xor_b32_e32 v10, v10, v13
	v_cndmask_b32_e32 v9, v14, v9, vcc_lo
	s_delay_alu instid0(VALU_DEP_2) | instskip(NEXT) | instid1(VALU_DEP_2)
	v_clz_i32_u32_e32 v14, v10
	v_alignbit_b32 v11, v11, v9, 30
	v_alignbit_b32 v8, v9, v8, 30
	s_delay_alu instid0(VALU_DEP_3) | instskip(NEXT) | instid1(VALU_DEP_3)
	v_min_u32_e32 v14, 32, v14
	v_xor_b32_e32 v9, v11, v13
	s_delay_alu instid0(VALU_DEP_3) | instskip(SKIP_4) | instid1(VALU_DEP_2)
	v_xor_b32_e32 v8, v8, v13
	v_lshrrev_b32_e32 v13, 29, v2
	v_lshrrev_b32_e32 v2, 30, v2
	v_sub_nc_u32_e32 v11, 31, v14
	v_lshlrev_b32_e32 v15, 23, v14
	v_alignbit_b32 v10, v10, v9, v11
	v_alignbit_b32 v8, v9, v8, v11
	v_lshlrev_b32_e32 v9, 31, v13
	s_delay_alu instid0(VALU_DEP_2) | instskip(NEXT) | instid1(VALU_DEP_2)
	v_alignbit_b32 v11, v10, v8, 9
	v_or_b32_e32 v13, 0.5, v9
	v_lshrrev_b32_e32 v10, 9, v10
	v_or_b32_e32 v9, 0x33000000, v9
	s_delay_alu instid0(VALU_DEP_4) | instskip(NEXT) | instid1(VALU_DEP_4)
	v_clz_i32_u32_e32 v16, v11
	v_sub_nc_u32_e32 v13, v13, v15
	s_delay_alu instid0(VALU_DEP_2) | instskip(NEXT) | instid1(VALU_DEP_2)
	v_min_u32_e32 v15, 32, v16
	v_or_b32_e32 v10, v10, v13
	s_delay_alu instid0(VALU_DEP_2) | instskip(NEXT) | instid1(VALU_DEP_2)
	v_not_b32_e32 v13, v15
	v_mul_f32_e32 v16, 0x3fc90fda, v10
	v_add_lshl_u32 v14, v15, v14, 23
	s_delay_alu instid0(VALU_DEP_3) | instskip(NEXT) | instid1(VALU_DEP_3)
	v_alignbit_b32 v8, v11, v8, v13
	v_fma_f32 v11, 0x3fc90fda, v10, -v16
	s_delay_alu instid0(VALU_DEP_3) | instskip(NEXT) | instid1(VALU_DEP_3)
	v_sub_nc_u32_e32 v9, v9, v14
	v_lshrrev_b32_e32 v8, 9, v8
	s_delay_alu instid0(VALU_DEP_3) | instskip(SKIP_1) | instid1(VALU_DEP_3)
	v_fmac_f32_e32 v11, 0x33a22168, v10
	v_add_nc_u32_e32 v10, v12, v2
                                        ; implicit-def: $vgpr2
	v_or_b32_e32 v8, v9, v8
	s_delay_alu instid0(VALU_DEP_1) | instskip(NEXT) | instid1(VALU_DEP_1)
	v_fmac_f32_e32 v11, 0x3fc90fda, v8
	v_add_f32_e32 v8, v16, v11
	s_wait_alu 0xfffe
	s_and_not1_saveexec_b32 s3, s11
	s_cbranch_execnz .LBB3_9
	s_branch .LBB3_10
.LBB3_8:                                ;   in Loop: Header=BB3_2 Depth=1
	s_wait_alu 0xfffe
	s_and_not1_saveexec_b32 s3, s11
.LBB3_9:                                ;   in Loop: Header=BB3_2 Depth=1
	v_fma_f32 v8, 0xbfc90fda, v2, |v4|
	v_cvt_i32_f32_e32 v10, v2
	s_delay_alu instid0(VALU_DEP_2) | instskip(NEXT) | instid1(VALU_DEP_1)
	v_fmac_f32_e32 v8, 0xb3a22168, v2
	v_fmac_f32_e32 v8, 0xa7c234c4, v2
.LBB3_10:                               ;   in Loop: Header=BB3_2 Depth=1
	s_wait_alu 0xfffe
	s_or_b32 exec_lo, exec_lo, s3
	v_add_co_u32 v11, vcc_lo, s42, v0
	s_wait_alu 0xfffd
	v_add_co_ci_u32_e64 v12, null, s43, v1, vcc_lo
                                        ; implicit-def: $vgpr13
	global_load_b32 v9, v[11:12], off
                                        ; implicit-def: $vgpr12
	s_wait_loadcnt 0x0
	v_and_b32_e32 v11, 0x7fffffff, v9
	v_cmp_ngt_f32_e64 s11, 0x48000000, |v9|
	s_delay_alu instid0(VALU_DEP_2) | instskip(SKIP_1) | instid1(VALU_DEP_2)
	v_lshrrev_b32_e32 v2, 23, v11
	v_and_or_b32 v15, v11, s8, 0x800000
	v_add_nc_u32_e32 v17, 0xffffff88, v2
	s_and_saveexec_b32 s3, s11
	s_wait_alu 0xfffe
	s_xor_b32 s12, exec_lo, s3
	s_cbranch_execz .LBB3_12
; %bb.11:                               ;   in Loop: Header=BB3_2 Depth=1
	v_mad_co_u64_u32 v[12:13], null, 0xfe5163ab, v15, 0
	v_cmp_lt_u32_e32 vcc_lo, 63, v17
	s_delay_alu instid0(VALU_DEP_2) | instskip(NEXT) | instid1(VALU_DEP_1)
	v_mov_b32_e32 v2, v13
	v_mad_co_u64_u32 v[13:14], null, 0x3c439041, v15, v[2:3]
	s_delay_alu instid0(VALU_DEP_1) | instskip(SKIP_2) | instid1(VALU_DEP_2)
	v_mov_b32_e32 v2, v14
	s_wait_alu 0xfffd
	v_cndmask_b32_e64 v14, 0, 0xffffffc0, vcc_lo
	v_mad_co_u64_u32 v[18:19], null, 0xdb629599, v15, v[2:3]
	s_delay_alu instid0(VALU_DEP_2) | instskip(NEXT) | instid1(VALU_DEP_1)
	v_add_nc_u32_e32 v14, v14, v17
	v_cmp_lt_u32_e64 s3, 31, v14
	s_delay_alu instid0(VALU_DEP_3) | instskip(NEXT) | instid1(VALU_DEP_4)
	v_mov_b32_e32 v2, v19
	v_cndmask_b32_e32 v12, v18, v12, vcc_lo
	s_wait_alu 0xf1ff
	s_delay_alu instid0(VALU_DEP_3) | instskip(NEXT) | instid1(VALU_DEP_3)
	v_cndmask_b32_e64 v16, 0, 0xffffffe0, s3
	v_mad_co_u64_u32 v[19:20], null, 0xf534ddc0, v15, v[2:3]
	s_delay_alu instid0(VALU_DEP_2) | instskip(NEXT) | instid1(VALU_DEP_2)
	v_add_nc_u32_e32 v14, v16, v14
	v_mov_b32_e32 v2, v20
	s_delay_alu instid0(VALU_DEP_2) | instskip(NEXT) | instid1(VALU_DEP_4)
	v_cmp_lt_u32_e64 s4, 31, v14
	v_cndmask_b32_e32 v13, v19, v13, vcc_lo
	s_delay_alu instid0(VALU_DEP_3) | instskip(NEXT) | instid1(VALU_DEP_2)
	v_mad_co_u64_u32 v[20:21], null, 0xfc2757d1, v15, v[2:3]
	v_cndmask_b32_e64 v12, v13, v12, s3
	s_delay_alu instid0(VALU_DEP_2) | instskip(NEXT) | instid1(VALU_DEP_1)
	v_mov_b32_e32 v2, v21
	v_mad_co_u64_u32 v[21:22], null, 0x4e441529, v15, v[2:3]
	s_delay_alu instid0(VALU_DEP_1) | instskip(NEXT) | instid1(VALU_DEP_2)
	v_mov_b32_e32 v2, v22
	v_cndmask_b32_e32 v16, v21, v19, vcc_lo
	s_delay_alu instid0(VALU_DEP_2) | instskip(SKIP_2) | instid1(VALU_DEP_1)
	v_mad_co_u64_u32 v[22:23], null, 0xa2f9836e, v15, v[2:3]
	s_wait_alu 0xf1ff
	v_cndmask_b32_e64 v2, 0, 0xffffffe0, s4
	v_add_nc_u32_e32 v2, v2, v14
	s_delay_alu instid0(VALU_DEP_3) | instskip(SKIP_1) | instid1(VALU_DEP_3)
	v_dual_cndmask_b32 v22, v22, v20 :: v_dual_cndmask_b32 v21, v23, v21
	v_cndmask_b32_e32 v20, v20, v18, vcc_lo
	v_cmp_eq_u32_e32 vcc_lo, 0, v2
	s_delay_alu instid0(VALU_DEP_3) | instskip(NEXT) | instid1(VALU_DEP_4)
	v_cndmask_b32_e64 v14, v22, v16, s3
	v_cndmask_b32_e64 v19, v21, v22, s3
	s_delay_alu instid0(VALU_DEP_4) | instskip(SKIP_2) | instid1(VALU_DEP_4)
	v_cndmask_b32_e64 v16, v16, v20, s3
	v_sub_nc_u32_e32 v21, 32, v2
	v_cndmask_b32_e64 v20, v20, v13, s3
	v_cndmask_b32_e64 v19, v19, v14, s4
	s_delay_alu instid0(VALU_DEP_4) | instskip(NEXT) | instid1(VALU_DEP_3)
	v_cndmask_b32_e64 v14, v14, v16, s4
	v_cndmask_b32_e64 v16, v16, v20, s4
	;; [unrolled: 1-line block ×3, first 2 shown]
	s_delay_alu instid0(VALU_DEP_3) | instskip(NEXT) | instid1(VALU_DEP_3)
	v_alignbit_b32 v22, v19, v14, v21
	v_alignbit_b32 v18, v14, v16, v21
	s_delay_alu instid0(VALU_DEP_3) | instskip(SKIP_1) | instid1(VALU_DEP_3)
	v_alignbit_b32 v20, v16, v12, v21
	s_wait_alu 0xfffd
	v_cndmask_b32_e32 v2, v22, v19, vcc_lo
	s_delay_alu instid0(VALU_DEP_2) | instskip(NEXT) | instid1(VALU_DEP_2)
	v_dual_cndmask_b32 v13, v18, v14 :: v_dual_cndmask_b32 v16, v20, v16
	v_bfe_u32 v14, v2, 29, 1
	s_delay_alu instid0(VALU_DEP_2) | instskip(NEXT) | instid1(VALU_DEP_3)
	v_alignbit_b32 v18, v2, v13, 30
	v_alignbit_b32 v13, v13, v16, 30
	;; [unrolled: 1-line block ×3, first 2 shown]
	s_delay_alu instid0(VALU_DEP_4) | instskip(NEXT) | instid1(VALU_DEP_1)
	v_sub_nc_u32_e32 v19, 0, v14
	v_xor_b32_e32 v18, v18, v19
	s_delay_alu instid0(VALU_DEP_4) | instskip(NEXT) | instid1(VALU_DEP_4)
	v_xor_b32_e32 v13, v13, v19
	v_xor_b32_e32 v12, v12, v19
	v_lshrrev_b32_e32 v19, 29, v2
	v_lshrrev_b32_e32 v2, 30, v2
	v_clz_i32_u32_e32 v20, v18
	s_delay_alu instid0(VALU_DEP_1) | instskip(NEXT) | instid1(VALU_DEP_1)
	v_min_u32_e32 v20, 32, v20
	v_sub_nc_u32_e32 v16, 31, v20
	v_lshlrev_b32_e32 v21, 23, v20
	s_delay_alu instid0(VALU_DEP_2) | instskip(SKIP_2) | instid1(VALU_DEP_2)
	v_alignbit_b32 v18, v18, v13, v16
	v_alignbit_b32 v12, v13, v12, v16
	v_lshlrev_b32_e32 v13, 31, v19
	v_alignbit_b32 v16, v18, v12, 9
	s_delay_alu instid0(VALU_DEP_2) | instskip(SKIP_2) | instid1(VALU_DEP_4)
	v_or_b32_e32 v19, 0.5, v13
	v_lshrrev_b32_e32 v18, 9, v18
	v_or_b32_e32 v13, 0x33000000, v13
	v_clz_i32_u32_e32 v22, v16
	s_delay_alu instid0(VALU_DEP_4) | instskip(NEXT) | instid1(VALU_DEP_2)
	v_sub_nc_u32_e32 v19, v19, v21
	v_min_u32_e32 v21, 32, v22
	s_delay_alu instid0(VALU_DEP_2) | instskip(NEXT) | instid1(VALU_DEP_2)
	v_or_b32_e32 v18, v18, v19
	v_not_b32_e32 v19, v21
	s_delay_alu instid0(VALU_DEP_2) | instskip(SKIP_1) | instid1(VALU_DEP_3)
	v_mul_f32_e32 v22, 0x3fc90fda, v18
	v_add_lshl_u32 v20, v21, v20, 23
	v_alignbit_b32 v12, v16, v12, v19
	s_delay_alu instid0(VALU_DEP_3) | instskip(NEXT) | instid1(VALU_DEP_3)
	v_fma_f32 v16, 0x3fc90fda, v18, -v22
	v_sub_nc_u32_e32 v13, v13, v20
	s_delay_alu instid0(VALU_DEP_3) | instskip(NEXT) | instid1(VALU_DEP_3)
	v_lshrrev_b32_e32 v12, 9, v12
	v_fmac_f32_e32 v16, 0x33a22168, v18
	s_delay_alu instid0(VALU_DEP_2) | instskip(NEXT) | instid1(VALU_DEP_1)
	v_or_b32_e32 v12, v13, v12
	v_dual_fmac_f32 v16, 0x3fc90fda, v12 :: v_dual_add_nc_u32 v13, v14, v2
	s_delay_alu instid0(VALU_DEP_1)
	v_add_f32_e32 v12, v22, v16
.LBB3_12:                               ;   in Loop: Header=BB3_2 Depth=1
	s_or_saveexec_b32 s3, s12
	v_mul_f32_e64 v2, 0x3f22f983, |v9|
	s_delay_alu instid0(VALU_DEP_1)
	v_rndne_f32_e32 v2, v2
	s_wait_alu 0xfffe
	s_xor_b32 exec_lo, exec_lo, s3
; %bb.13:                               ;   in Loop: Header=BB3_2 Depth=1
	s_delay_alu instid0(VALU_DEP_1) | instskip(SKIP_1) | instid1(VALU_DEP_2)
	v_fma_f32 v12, 0xbfc90fda, v2, |v9|
	v_cvt_i32_f32_e32 v13, v2
	v_fmac_f32_e32 v12, 0xb3a22168, v2
	s_delay_alu instid0(VALU_DEP_1)
	v_fmac_f32_e32 v12, 0xa7c234c4, v2
; %bb.14:                               ;   in Loop: Header=BB3_2 Depth=1
	s_or_b32 exec_lo, exec_lo, s3
                                        ; implicit-def: $vgpr16
                                        ; implicit-def: $vgpr14
	s_and_saveexec_b32 s3, s11
	s_wait_alu 0xfffe
	s_xor_b32 s11, exec_lo, s3
	s_cbranch_execz .LBB3_16
; %bb.15:                               ;   in Loop: Header=BB3_2 Depth=1
	v_mad_co_u64_u32 v[18:19], null, 0xfe5163ab, v15, 0
	v_cmp_lt_u32_e32 vcc_lo, 63, v17
	s_wait_alu 0xfffd
	v_cndmask_b32_e64 v14, 0, 0xffffffc0, vcc_lo
	s_delay_alu instid0(VALU_DEP_3) | instskip(NEXT) | instid1(VALU_DEP_2)
	v_mov_b32_e32 v2, v19
	v_add_nc_u32_e32 v14, v14, v17
	s_delay_alu instid0(VALU_DEP_2) | instskip(NEXT) | instid1(VALU_DEP_2)
	v_mad_co_u64_u32 v[19:20], null, 0x3c439041, v15, v[2:3]
	v_cmp_lt_u32_e64 s3, 31, v14
	s_delay_alu instid0(VALU_DEP_2) | instskip(NEXT) | instid1(VALU_DEP_1)
	v_mov_b32_e32 v2, v20
	v_mad_co_u64_u32 v[20:21], null, 0xdb629599, v15, v[2:3]
	s_delay_alu instid0(VALU_DEP_1) | instskip(NEXT) | instid1(VALU_DEP_2)
	v_mov_b32_e32 v2, v21
	v_cndmask_b32_e32 v18, v20, v18, vcc_lo
	s_delay_alu instid0(VALU_DEP_2) | instskip(NEXT) | instid1(VALU_DEP_1)
	v_mad_co_u64_u32 v[21:22], null, 0xf534ddc0, v15, v[2:3]
	v_mov_b32_e32 v2, v22
	s_delay_alu instid0(VALU_DEP_1) | instskip(NEXT) | instid1(VALU_DEP_1)
	v_mad_co_u64_u32 v[22:23], null, 0xfc2757d1, v15, v[2:3]
	v_mov_b32_e32 v2, v23
	s_wait_alu 0xf1ff
	v_cndmask_b32_e64 v23, 0, 0xffffffe0, s3
	s_delay_alu instid0(VALU_DEP_2) | instskip(NEXT) | instid1(VALU_DEP_1)
	v_mad_co_u64_u32 v[16:17], null, 0x4e441529, v15, v[2:3]
	v_dual_mov_b32 v2, v17 :: v_dual_add_nc_u32 v17, v23, v14
	s_delay_alu instid0(VALU_DEP_2) | instskip(NEXT) | instid1(VALU_DEP_2)
	v_cndmask_b32_e32 v23, v16, v21, vcc_lo
	v_mad_co_u64_u32 v[14:15], null, 0xa2f9836e, v15, v[2:3]
	s_delay_alu instid0(VALU_DEP_3) | instskip(SKIP_1) | instid1(VALU_DEP_1)
	v_cmp_lt_u32_e64 s4, 31, v17
	s_wait_alu 0xf1ff
	v_cndmask_b32_e64 v2, 0, 0xffffffe0, s4
	s_delay_alu instid0(VALU_DEP_3) | instskip(SKIP_1) | instid1(VALU_DEP_3)
	v_dual_cndmask_b32 v14, v14, v22 :: v_dual_cndmask_b32 v15, v15, v16
	v_cndmask_b32_e32 v16, v22, v20, vcc_lo
	v_dual_cndmask_b32 v17, v21, v19 :: v_dual_add_nc_u32 v2, v2, v17
	s_delay_alu instid0(VALU_DEP_3) | instskip(NEXT) | instid1(VALU_DEP_4)
	v_cndmask_b32_e64 v19, v14, v23, s3
	v_cndmask_b32_e64 v14, v15, v14, s3
	s_delay_alu instid0(VALU_DEP_4) | instskip(NEXT) | instid1(VALU_DEP_4)
	v_cndmask_b32_e64 v15, v23, v16, s3
	v_sub_nc_u32_e32 v21, 32, v2
	v_cndmask_b32_e64 v16, v16, v17, s3
	v_cmp_eq_u32_e32 vcc_lo, 0, v2
	v_cndmask_b32_e64 v14, v14, v19, s4
	v_cndmask_b32_e64 v19, v19, v15, s4
	s_delay_alu instid0(VALU_DEP_4) | instskip(NEXT) | instid1(VALU_DEP_2)
	v_cndmask_b32_e64 v15, v15, v16, s4
	v_alignbit_b32 v22, v14, v19, v21
	s_delay_alu instid0(VALU_DEP_2) | instskip(SKIP_1) | instid1(VALU_DEP_2)
	v_alignbit_b32 v20, v19, v15, v21
	s_wait_alu 0xfffd
	v_cndmask_b32_e32 v2, v22, v14, vcc_lo
	v_cndmask_b32_e64 v14, v17, v18, s3
	s_delay_alu instid0(VALU_DEP_3) | instskip(NEXT) | instid1(VALU_DEP_3)
	v_cndmask_b32_e32 v17, v20, v19, vcc_lo
	v_bfe_u32 v18, v2, 29, 1
	s_delay_alu instid0(VALU_DEP_3) | instskip(NEXT) | instid1(VALU_DEP_3)
	v_cndmask_b32_e64 v14, v16, v14, s4
	v_alignbit_b32 v16, v2, v17, 30
	s_delay_alu instid0(VALU_DEP_3) | instskip(NEXT) | instid1(VALU_DEP_3)
	v_sub_nc_u32_e32 v19, 0, v18
	v_alignbit_b32 v20, v15, v14, v21
	s_delay_alu instid0(VALU_DEP_2) | instskip(NEXT) | instid1(VALU_DEP_2)
	v_xor_b32_e32 v16, v16, v19
	v_cndmask_b32_e32 v15, v20, v15, vcc_lo
	s_delay_alu instid0(VALU_DEP_2) | instskip(NEXT) | instid1(VALU_DEP_2)
	v_clz_i32_u32_e32 v20, v16
	v_alignbit_b32 v17, v17, v15, 30
	v_alignbit_b32 v14, v15, v14, 30
	s_delay_alu instid0(VALU_DEP_3) | instskip(NEXT) | instid1(VALU_DEP_3)
	v_min_u32_e32 v20, 32, v20
	v_xor_b32_e32 v15, v17, v19
	s_delay_alu instid0(VALU_DEP_3) | instskip(SKIP_4) | instid1(VALU_DEP_2)
	v_xor_b32_e32 v14, v14, v19
	v_lshrrev_b32_e32 v19, 29, v2
	v_lshrrev_b32_e32 v2, 30, v2
	v_sub_nc_u32_e32 v17, 31, v20
	v_lshlrev_b32_e32 v21, 23, v20
	v_alignbit_b32 v16, v16, v15, v17
	v_alignbit_b32 v14, v15, v14, v17
	v_lshlrev_b32_e32 v15, 31, v19
	s_delay_alu instid0(VALU_DEP_2) | instskip(NEXT) | instid1(VALU_DEP_2)
	v_alignbit_b32 v17, v16, v14, 9
	v_or_b32_e32 v19, 0.5, v15
	v_lshrrev_b32_e32 v16, 9, v16
	v_or_b32_e32 v15, 0x33000000, v15
	s_delay_alu instid0(VALU_DEP_4) | instskip(NEXT) | instid1(VALU_DEP_4)
	v_clz_i32_u32_e32 v22, v17
	v_sub_nc_u32_e32 v19, v19, v21
	s_delay_alu instid0(VALU_DEP_2) | instskip(NEXT) | instid1(VALU_DEP_2)
	v_min_u32_e32 v21, 32, v22
	v_or_b32_e32 v16, v16, v19
	s_delay_alu instid0(VALU_DEP_2) | instskip(NEXT) | instid1(VALU_DEP_2)
	v_not_b32_e32 v19, v21
	v_mul_f32_e32 v22, 0x3fc90fda, v16
	v_add_lshl_u32 v20, v21, v20, 23
	s_delay_alu instid0(VALU_DEP_3) | instskip(NEXT) | instid1(VALU_DEP_3)
	v_alignbit_b32 v14, v17, v14, v19
	v_fma_f32 v17, 0x3fc90fda, v16, -v22
	s_delay_alu instid0(VALU_DEP_3) | instskip(NEXT) | instid1(VALU_DEP_3)
	v_sub_nc_u32_e32 v15, v15, v20
	v_lshrrev_b32_e32 v14, 9, v14
	s_delay_alu instid0(VALU_DEP_3) | instskip(NEXT) | instid1(VALU_DEP_2)
	v_dual_fmac_f32 v17, 0x33a22168, v16 :: v_dual_add_nc_u32 v16, v18, v2
                                        ; implicit-def: $vgpr2
	v_or_b32_e32 v14, v15, v14
	s_delay_alu instid0(VALU_DEP_1) | instskip(NEXT) | instid1(VALU_DEP_1)
	v_fmac_f32_e32 v17, 0x3fc90fda, v14
	v_add_f32_e32 v14, v22, v17
	s_wait_alu 0xfffe
	s_and_not1_saveexec_b32 s3, s11
	s_cbranch_execnz .LBB3_17
	s_branch .LBB3_18
.LBB3_16:                               ;   in Loop: Header=BB3_2 Depth=1
	s_wait_alu 0xfffe
	s_and_not1_saveexec_b32 s3, s11
.LBB3_17:                               ;   in Loop: Header=BB3_2 Depth=1
	v_fma_f32 v14, 0xbfc90fda, v2, |v9|
	v_cvt_i32_f32_e32 v16, v2
	s_delay_alu instid0(VALU_DEP_2) | instskip(NEXT) | instid1(VALU_DEP_1)
	v_fmac_f32_e32 v14, 0xb3a22168, v2
	v_fmac_f32_e32 v14, 0xa7c234c4, v2
.LBB3_18:                               ;   in Loop: Header=BB3_2 Depth=1
	s_wait_alu 0xfffe
	s_or_b32 exec_lo, exec_lo, s3
	v_add_co_u32 v17, vcc_lo, s44, v0
	s_wait_alu 0xfffd
	v_add_co_ci_u32_e64 v18, null, s45, v1, vcc_lo
                                        ; implicit-def: $vgpr19
	global_load_b32 v15, v[17:18], off
                                        ; implicit-def: $vgpr18
	s_wait_loadcnt 0x0
	v_and_b32_e32 v17, 0x7fffffff, v15
	v_cmp_ngt_f32_e64 s11, 0x48000000, |v15|
	s_delay_alu instid0(VALU_DEP_2) | instskip(SKIP_1) | instid1(VALU_DEP_2)
	v_lshrrev_b32_e32 v2, 23, v17
	v_and_or_b32 v20, v17, s8, 0x800000
	v_add_nc_u32_e32 v21, 0xffffff88, v2
	s_and_saveexec_b32 s3, s11
	s_wait_alu 0xfffe
	s_xor_b32 s12, exec_lo, s3
	s_cbranch_execz .LBB3_20
; %bb.19:                               ;   in Loop: Header=BB3_2 Depth=1
	v_mad_co_u64_u32 v[18:19], null, 0xfe5163ab, v20, 0
	v_cmp_lt_u32_e32 vcc_lo, 63, v21
	s_delay_alu instid0(VALU_DEP_2) | instskip(SKIP_2) | instid1(VALU_DEP_1)
	v_mov_b32_e32 v2, v19
	s_wait_alu 0xfffd
	v_cndmask_b32_e64 v19, 0, 0xffffffc0, vcc_lo
	v_add_nc_u32_e32 v19, v19, v21
	s_delay_alu instid0(VALU_DEP_1) | instskip(SKIP_1) | instid1(VALU_DEP_1)
	v_cmp_lt_u32_e64 s3, 31, v19
	s_wait_alu 0xf1ff
	v_cndmask_b32_e64 v28, 0, 0xffffffe0, s3
	s_delay_alu instid0(VALU_DEP_1) | instskip(SKIP_1) | instid1(VALU_DEP_2)
	v_add_nc_u32_e32 v19, v28, v19
	v_mad_co_u64_u32 v[22:23], null, 0x3c439041, v20, v[2:3]
	v_cmp_lt_u32_e64 s4, 31, v19
	s_delay_alu instid0(VALU_DEP_2) | instskip(NEXT) | instid1(VALU_DEP_1)
	v_mov_b32_e32 v2, v23
	v_mad_co_u64_u32 v[23:24], null, 0xdb629599, v20, v[2:3]
	s_delay_alu instid0(VALU_DEP_1) | instskip(NEXT) | instid1(VALU_DEP_2)
	v_mov_b32_e32 v2, v24
	v_cndmask_b32_e32 v18, v23, v18, vcc_lo
	s_delay_alu instid0(VALU_DEP_2) | instskip(NEXT) | instid1(VALU_DEP_1)
	v_mad_co_u64_u32 v[24:25], null, 0xf534ddc0, v20, v[2:3]
	v_mov_b32_e32 v2, v25
	s_delay_alu instid0(VALU_DEP_1) | instskip(NEXT) | instid1(VALU_DEP_1)
	v_mad_co_u64_u32 v[25:26], null, 0xfc2757d1, v20, v[2:3]
	v_mov_b32_e32 v2, v26
	s_delay_alu instid0(VALU_DEP_1) | instskip(NEXT) | instid1(VALU_DEP_1)
	v_mad_co_u64_u32 v[26:27], null, 0x4e441529, v20, v[2:3]
	v_dual_mov_b32 v2, v27 :: v_dual_cndmask_b32 v29, v26, v24
	s_delay_alu instid0(VALU_DEP_1) | instskip(SKIP_2) | instid1(VALU_DEP_1)
	v_mad_co_u64_u32 v[27:28], null, 0xa2f9836e, v20, v[2:3]
	s_wait_alu 0xf1ff
	v_cndmask_b32_e64 v2, 0, 0xffffffe0, s4
	v_dual_cndmask_b32 v27, v27, v25 :: v_dual_add_nc_u32 v2, v2, v19
	s_delay_alu instid0(VALU_DEP_3) | instskip(SKIP_1) | instid1(VALU_DEP_3)
	v_dual_cndmask_b32 v26, v28, v26 :: v_dual_cndmask_b32 v25, v25, v23
	v_cndmask_b32_e32 v19, v24, v22, vcc_lo
	v_cmp_eq_u32_e32 vcc_lo, 0, v2
	s_delay_alu instid0(VALU_DEP_4) | instskip(NEXT) | instid1(VALU_DEP_4)
	v_cndmask_b32_e64 v22, v27, v29, s3
	v_cndmask_b32_e64 v24, v26, v27, s3
	;; [unrolled: 1-line block ×3, first 2 shown]
	v_sub_nc_u32_e32 v27, 32, v2
	v_cndmask_b32_e64 v25, v25, v19, s3
	v_cndmask_b32_e64 v18, v19, v18, s3
	;; [unrolled: 1-line block ×4, first 2 shown]
	s_delay_alu instid0(VALU_DEP_4) | instskip(NEXT) | instid1(VALU_DEP_4)
	v_cndmask_b32_e64 v26, v26, v25, s4
	v_cndmask_b32_e64 v18, v25, v18, s4
	s_delay_alu instid0(VALU_DEP_3) | instskip(NEXT) | instid1(VALU_DEP_3)
	v_alignbit_b32 v28, v24, v22, v27
	v_alignbit_b32 v23, v22, v26, v27
	s_delay_alu instid0(VALU_DEP_3) | instskip(SKIP_1) | instid1(VALU_DEP_2)
	v_alignbit_b32 v25, v26, v18, v27
	s_wait_alu 0xfffd
	v_dual_cndmask_b32 v2, v28, v24 :: v_dual_cndmask_b32 v19, v23, v22
	s_delay_alu instid0(VALU_DEP_2) | instskip(NEXT) | instid1(VALU_DEP_2)
	v_cndmask_b32_e32 v25, v25, v26, vcc_lo
	v_bfe_u32 v22, v2, 29, 1
	s_delay_alu instid0(VALU_DEP_3) | instskip(NEXT) | instid1(VALU_DEP_3)
	v_alignbit_b32 v23, v2, v19, 30
	v_alignbit_b32 v19, v19, v25, 30
	;; [unrolled: 1-line block ×3, first 2 shown]
	s_delay_alu instid0(VALU_DEP_4) | instskip(NEXT) | instid1(VALU_DEP_1)
	v_sub_nc_u32_e32 v24, 0, v22
	v_xor_b32_e32 v23, v23, v24
	s_delay_alu instid0(VALU_DEP_4) | instskip(NEXT) | instid1(VALU_DEP_4)
	v_xor_b32_e32 v19, v19, v24
	v_xor_b32_e32 v18, v18, v24
	s_delay_alu instid0(VALU_DEP_3) | instskip(NEXT) | instid1(VALU_DEP_1)
	v_clz_i32_u32_e32 v26, v23
	v_min_u32_e32 v26, 32, v26
	s_delay_alu instid0(VALU_DEP_1) | instskip(SKIP_3) | instid1(VALU_DEP_4)
	v_sub_nc_u32_e32 v25, 31, v26
	v_lshlrev_b32_e32 v27, 23, v26
	v_lshrrev_b32_e32 v24, 29, v2
	v_lshrrev_b32_e32 v2, 30, v2
	v_alignbit_b32 v23, v23, v19, v25
	v_alignbit_b32 v18, v19, v18, v25
	s_delay_alu instid0(VALU_DEP_4) | instskip(NEXT) | instid1(VALU_DEP_2)
	v_lshlrev_b32_e32 v19, 31, v24
	v_alignbit_b32 v24, v23, v18, 9
	s_delay_alu instid0(VALU_DEP_2) | instskip(SKIP_2) | instid1(VALU_DEP_4)
	v_or_b32_e32 v25, 0.5, v19
	v_lshrrev_b32_e32 v23, 9, v23
	v_or_b32_e32 v19, 0x33000000, v19
	v_clz_i32_u32_e32 v28, v24
	s_delay_alu instid0(VALU_DEP_4) | instskip(NEXT) | instid1(VALU_DEP_2)
	v_sub_nc_u32_e32 v25, v25, v27
	v_min_u32_e32 v27, 32, v28
	s_delay_alu instid0(VALU_DEP_2) | instskip(NEXT) | instid1(VALU_DEP_2)
	v_or_b32_e32 v23, v23, v25
	v_not_b32_e32 v25, v27
	v_add_lshl_u32 v26, v27, v26, 23
	s_delay_alu instid0(VALU_DEP_3) | instskip(NEXT) | instid1(VALU_DEP_3)
	v_mul_f32_e32 v28, 0x3fc90fda, v23
	v_alignbit_b32 v18, v24, v18, v25
	s_delay_alu instid0(VALU_DEP_3) | instskip(NEXT) | instid1(VALU_DEP_2)
	v_sub_nc_u32_e32 v19, v19, v26
	v_lshrrev_b32_e32 v18, 9, v18
	s_delay_alu instid0(VALU_DEP_1) | instskip(SKIP_2) | instid1(VALU_DEP_1)
	v_or_b32_e32 v18, v19, v18
	v_add_nc_u32_e32 v19, v22, v2
	v_fma_f32 v24, 0x3fc90fda, v23, -v28
	v_fmac_f32_e32 v24, 0x33a22168, v23
	s_delay_alu instid0(VALU_DEP_1) | instskip(NEXT) | instid1(VALU_DEP_1)
	v_fmac_f32_e32 v24, 0x3fc90fda, v18
	v_add_f32_e32 v18, v28, v24
.LBB3_20:                               ;   in Loop: Header=BB3_2 Depth=1
	s_or_saveexec_b32 s3, s12
	v_mul_f32_e64 v2, 0x3f22f983, |v15|
	s_delay_alu instid0(VALU_DEP_1)
	v_rndne_f32_e32 v23, v2
	s_wait_alu 0xfffe
	s_xor_b32 exec_lo, exec_lo, s3
; %bb.21:                               ;   in Loop: Header=BB3_2 Depth=1
	s_delay_alu instid0(VALU_DEP_1) | instskip(SKIP_1) | instid1(VALU_DEP_2)
	v_fma_f32 v18, 0xbfc90fda, v23, |v15|
	v_cvt_i32_f32_e32 v19, v23
	v_fmac_f32_e32 v18, 0xb3a22168, v23
	s_delay_alu instid0(VALU_DEP_1)
	v_fmac_f32_e32 v18, 0xa7c234c4, v23
; %bb.22:                               ;   in Loop: Header=BB3_2 Depth=1
	s_or_b32 exec_lo, exec_lo, s3
                                        ; implicit-def: $vgpr22
                                        ; implicit-def: $vgpr2
	s_and_saveexec_b32 s3, s11
	s_wait_alu 0xfffe
	s_xor_b32 s11, exec_lo, s3
	s_cbranch_execz .LBB3_24
; %bb.23:                               ;   in Loop: Header=BB3_2 Depth=1
	v_mad_co_u64_u32 v[22:23], null, 0xfe5163ab, v20, 0
	v_cmp_lt_u32_e32 vcc_lo, 63, v21
	s_wait_alu 0xfffd
	v_cndmask_b32_e64 v28, 0, 0xffffffc0, vcc_lo
	s_delay_alu instid0(VALU_DEP_1) | instskip(NEXT) | instid1(VALU_DEP_1)
	v_dual_mov_b32 v2, v23 :: v_dual_add_nc_u32 v21, v28, v21
	v_mad_co_u64_u32 v[23:24], null, 0x3c439041, v20, v[2:3]
	s_delay_alu instid0(VALU_DEP_2) | instskip(NEXT) | instid1(VALU_DEP_2)
	v_cmp_lt_u32_e64 s3, 31, v21
	v_mov_b32_e32 v2, v24
	s_wait_alu 0xf1ff
	s_delay_alu instid0(VALU_DEP_2) | instskip(NEXT) | instid1(VALU_DEP_2)
	v_cndmask_b32_e64 v29, 0, 0xffffffe0, s3
	v_mad_co_u64_u32 v[24:25], null, 0xdb629599, v20, v[2:3]
	s_delay_alu instid0(VALU_DEP_1) | instskip(NEXT) | instid1(VALU_DEP_2)
	v_mov_b32_e32 v2, v25
	v_cndmask_b32_e32 v22, v24, v22, vcc_lo
	s_delay_alu instid0(VALU_DEP_2) | instskip(NEXT) | instid1(VALU_DEP_1)
	v_mad_co_u64_u32 v[25:26], null, 0xf534ddc0, v20, v[2:3]
	v_dual_mov_b32 v2, v26 :: v_dual_cndmask_b32 v23, v25, v23
	s_delay_alu instid0(VALU_DEP_1) | instskip(NEXT) | instid1(VALU_DEP_1)
	v_mad_co_u64_u32 v[26:27], null, 0xfc2757d1, v20, v[2:3]
	v_mov_b32_e32 v2, v27
	s_delay_alu instid0(VALU_DEP_1) | instskip(NEXT) | instid1(VALU_DEP_1)
	v_mad_co_u64_u32 v[27:28], null, 0x4e441529, v20, v[2:3]
	v_mov_b32_e32 v2, v28
	v_add_nc_u32_e32 v28, v29, v21
	s_delay_alu instid0(VALU_DEP_3) | instskip(NEXT) | instid1(VALU_DEP_3)
	v_cndmask_b32_e32 v29, v27, v25, vcc_lo
	v_mad_co_u64_u32 v[20:21], null, 0xa2f9836e, v20, v[2:3]
	s_delay_alu instid0(VALU_DEP_3) | instskip(SKIP_1) | instid1(VALU_DEP_1)
	v_cmp_lt_u32_e64 s4, 31, v28
	s_wait_alu 0xf1ff
	v_cndmask_b32_e64 v2, 0, 0xffffffe0, s4
	s_delay_alu instid0(VALU_DEP_3) | instskip(SKIP_1) | instid1(VALU_DEP_3)
	v_dual_cndmask_b32 v20, v20, v26 :: v_dual_cndmask_b32 v21, v21, v27
	v_cndmask_b32_e32 v26, v26, v24, vcc_lo
	v_add_nc_u32_e32 v2, v2, v28
	s_delay_alu instid0(VALU_DEP_3) | instskip(NEXT) | instid1(VALU_DEP_4)
	v_cndmask_b32_e64 v25, v20, v29, s3
	v_cndmask_b32_e64 v20, v21, v20, s3
	s_delay_alu instid0(VALU_DEP_4)
	v_cndmask_b32_e64 v21, v29, v26, s3
	v_cndmask_b32_e64 v26, v26, v23, s3
	v_sub_nc_u32_e32 v27, 32, v2
	v_cmp_eq_u32_e32 vcc_lo, 0, v2
	v_cndmask_b32_e64 v20, v20, v25, s4
	v_cndmask_b32_e64 v25, v25, v21, s4
	;; [unrolled: 1-line block ×3, first 2 shown]
	s_delay_alu instid0(VALU_DEP_2) | instskip(NEXT) | instid1(VALU_DEP_2)
	v_alignbit_b32 v28, v20, v25, v27
	v_alignbit_b32 v24, v25, v21, v27
	s_wait_alu 0xfffd
	s_delay_alu instid0(VALU_DEP_2) | instskip(SKIP_1) | instid1(VALU_DEP_3)
	v_cndmask_b32_e32 v2, v28, v20, vcc_lo
	v_cndmask_b32_e64 v20, v23, v22, s3
	v_cndmask_b32_e32 v22, v24, v25, vcc_lo
	s_delay_alu instid0(VALU_DEP_3) | instskip(NEXT) | instid1(VALU_DEP_3)
	v_bfe_u32 v23, v2, 29, 1
	v_cndmask_b32_e64 v20, v26, v20, s4
	s_delay_alu instid0(VALU_DEP_3) | instskip(NEXT) | instid1(VALU_DEP_3)
	v_alignbit_b32 v24, v2, v22, 30
	v_sub_nc_u32_e32 v25, 0, v23
	s_delay_alu instid0(VALU_DEP_3) | instskip(NEXT) | instid1(VALU_DEP_2)
	v_alignbit_b32 v26, v21, v20, v27
	v_xor_b32_e32 v24, v24, v25
	s_delay_alu instid0(VALU_DEP_2) | instskip(NEXT) | instid1(VALU_DEP_2)
	v_cndmask_b32_e32 v21, v26, v21, vcc_lo
	v_clz_i32_u32_e32 v26, v24
	s_delay_alu instid0(VALU_DEP_2) | instskip(SKIP_1) | instid1(VALU_DEP_3)
	v_alignbit_b32 v22, v22, v21, 30
	v_alignbit_b32 v20, v21, v20, 30
	v_min_u32_e32 v26, 32, v26
	s_delay_alu instid0(VALU_DEP_3) | instskip(NEXT) | instid1(VALU_DEP_3)
	v_xor_b32_e32 v21, v22, v25
	v_xor_b32_e32 v20, v20, v25
	s_delay_alu instid0(VALU_DEP_3) | instskip(SKIP_2) | instid1(VALU_DEP_3)
	v_sub_nc_u32_e32 v22, 31, v26
	v_lshlrev_b32_e32 v27, 23, v26
	v_lshrrev_b32_e32 v25, 29, v2
	v_alignbit_b32 v24, v24, v21, v22
	v_alignbit_b32 v20, v21, v20, v22
	s_delay_alu instid0(VALU_DEP_3) | instskip(NEXT) | instid1(VALU_DEP_2)
	v_lshlrev_b32_e32 v21, 31, v25
	v_alignbit_b32 v22, v24, v20, 9
	s_delay_alu instid0(VALU_DEP_2) | instskip(SKIP_2) | instid1(VALU_DEP_4)
	v_or_b32_e32 v25, 0.5, v21
	v_lshrrev_b32_e32 v24, 9, v24
	v_or_b32_e32 v21, 0x33000000, v21
	v_clz_i32_u32_e32 v28, v22
	s_delay_alu instid0(VALU_DEP_4) | instskip(NEXT) | instid1(VALU_DEP_2)
	v_sub_nc_u32_e32 v25, v25, v27
	v_min_u32_e32 v27, 32, v28
	s_delay_alu instid0(VALU_DEP_2) | instskip(NEXT) | instid1(VALU_DEP_2)
	v_or_b32_e32 v24, v24, v25
	v_not_b32_e32 v25, v27
	s_delay_alu instid0(VALU_DEP_2) | instskip(SKIP_1) | instid1(VALU_DEP_3)
	v_mul_f32_e32 v28, 0x3fc90fda, v24
	v_add_lshl_u32 v26, v27, v26, 23
	v_alignbit_b32 v20, v22, v20, v25
	s_delay_alu instid0(VALU_DEP_3) | instskip(NEXT) | instid1(VALU_DEP_3)
	v_fma_f32 v22, 0x3fc90fda, v24, -v28
	v_sub_nc_u32_e32 v21, v21, v26
	s_delay_alu instid0(VALU_DEP_3) | instskip(NEXT) | instid1(VALU_DEP_3)
	v_lshrrev_b32_e32 v20, 9, v20
	v_fmac_f32_e32 v22, 0x33a22168, v24
	s_delay_alu instid0(VALU_DEP_2) | instskip(NEXT) | instid1(VALU_DEP_1)
	v_or_b32_e32 v20, v21, v20
	v_fmac_f32_e32 v22, 0x3fc90fda, v20
	v_lshrrev_b32_e32 v20, 30, v2
	s_delay_alu instid0(VALU_DEP_2) | instskip(NEXT) | instid1(VALU_DEP_2)
	v_add_f32_e32 v2, v28, v22
	v_add_nc_u32_e32 v22, v23, v20
                                        ; implicit-def: $vgpr23
	s_wait_alu 0xfffe
	s_and_not1_saveexec_b32 s3, s11
	s_cbranch_execz .LBB3_1
	s_branch .LBB3_25
.LBB3_24:                               ;   in Loop: Header=BB3_2 Depth=1
	s_wait_alu 0xfffe
	s_and_not1_saveexec_b32 s3, s11
	s_cbranch_execz .LBB3_1
.LBB3_25:                               ;   in Loop: Header=BB3_2 Depth=1
	v_fma_f32 v2, 0xbfc90fda, v23, |v15|
	v_cvt_i32_f32_e32 v22, v23
	s_delay_alu instid0(VALU_DEP_2) | instskip(NEXT) | instid1(VALU_DEP_1)
	v_fmac_f32_e32 v2, 0xb3a22168, v23
	v_fmac_f32_e32 v2, 0xa7c234c4, v23
	s_branch .LBB3_1
.LBB3_26:
	s_clause 0x19
	scratch_load_b128 v[8:11], off, off offset:32
	scratch_load_b128 v[12:15], off, off offset:48
	;; [unrolled: 1-line block ×24, first 2 shown]
	scratch_load_b128 v[4:7], off, off
	scratch_load_b128 v[0:3], off, off offset:16
	s_clause 0x1
	s_load_b64 s[4:5], s[0:1], 0x0
	s_load_b128 s[40:43], s[0:1], 0x48
	v_mov_b32_e32 v117, 0
	s_mov_b32 s35, 0
	s_add_nc_u64 s[36:37], s[36:37], 8
	s_mov_b32 s34, s35
	s_wait_kmcnt 0x0
	s_max_i32 s46, s5, 1
	s_max_i32 s47, s4, 1
.LBB3_27:                               ; =>This Loop Header: Depth=1
                                        ;     Child Loop BB3_28 Depth 2
	s_lshl_b64 s[0:1], s[34:35], 4
	s_wait_alu 0xfffe
	s_mov_b32 s48, s46
	s_add_nc_u64 s[0:1], s[38:39], s[0:1]
	s_mov_b64 s[44:45], s[36:37]
	global_load_b128 v[108:111], v117, s[0:1]
	s_wait_loadcnt 0x0
	v_ashrrev_i32_e32 v105, 31, v111
	v_fma_f32 v119, v108, v12, v15
	v_mov_b32_e32 v104, v111
	v_fma_f32 v118, v108, v8, v11
	v_fma_f32 v120, v108, v16, v19
	v_fma_f32 v121, v108, v20, v23
	v_fmac_f32_e32 v119, v109, v13
	v_lshlrev_b64_e32 v[104:105], 4, v[104:105]
	v_fmac_f32_e32 v118, v109, v9
	v_fma_f32 v122, v108, v24, v27
	v_fma_f32 v123, v108, v28, v31
	v_fmac_f32_e32 v119, v110, v14
	s_delay_alu instid0(VALU_DEP_4) | instskip(SKIP_3) | instid1(VALU_DEP_3)
	v_dual_fmac_f32 v121, v109, v21 :: v_dual_fmac_f32 v118, v110, v10
	v_add_co_u32 v104, vcc_lo, s42, v104
	s_wait_alu 0xfffd
	v_add_co_ci_u32_e64 v105, null, s43, v105, vcc_lo
	v_dual_fmac_f32 v120, v109, v17 :: v_dual_fmac_f32 v121, v110, v22
	v_fma_f32 v124, v108, v32, v35
	global_load_b128 v[104:107], v[104:105], off
	v_fma_f32 v125, v108, v36, v39
	v_dual_fmac_f32 v123, v109, v29 :: v_dual_fmac_f32 v120, v110, v18
	v_fmac_f32_e32 v122, v109, v25
	v_fma_f32 v126, v108, v40, v43
	v_fma_f32 v127, v108, v44, v47
	s_delay_alu instid0(VALU_DEP_4) | instskip(NEXT) | instid1(VALU_DEP_4)
	v_fmac_f32_e32 v123, v110, v30
	v_dual_fmac_f32 v125, v109, v37 :: v_dual_fmac_f32 v122, v110, v26
	v_fmac_f32_e32 v124, v109, v33
	v_fma_f32 v128, v108, v48, v51
	v_fma_f32 v129, v108, v52, v55
	s_delay_alu instid0(VALU_DEP_4) | instskip(NEXT) | instid1(VALU_DEP_4)
	v_fmac_f32_e32 v125, v110, v38
	;; [unrolled: 6-line block ×8, first 2 shown]
	v_dual_fmac_f32 v139, v109, v93 :: v_dual_fmac_f32 v136, v110, v82
	s_delay_alu instid0(VALU_DEP_1) | instskip(NEXT) | instid1(VALU_DEP_1)
	v_dual_fmac_f32 v138, v109, v89 :: v_dual_fmac_f32 v139, v110, v94
	v_dual_fmac_f32 v141, v109, v101 :: v_dual_fmac_f32 v138, v110, v90
	s_delay_alu instid0(VALU_DEP_1) | instskip(NEXT) | instid1(VALU_DEP_1)
	v_dual_fmac_f32 v140, v109, v97 :: v_dual_fmac_f32 v141, v110, v102
	v_fmac_f32_e32 v140, v110, v98
	s_wait_loadcnt 0x0
	v_readfirstlane_b32 s49, v106
	v_readfirstlane_b32 s0, v104
	s_cmp_gt_f32 s49, 0
	s_cselect_b32 s50, -1, 0
	s_wait_alu 0xfffe
	s_cmp_eq_u32 s0, 0x46
	s_cselect_b32 s51, -1, 0
	s_cmp_eq_u32 s0, 0x45
	s_cselect_b32 s52, -1, 0
	s_cmp_lt_f32 s49, 0
	s_cselect_b32 s53, -1, 0
	s_delay_alu instid0(SALU_CYCLE_1)
	s_and_b32 s0, s53, exec_lo
	s_cselect_b32 s54, 0x40b00000, 1.0
	s_cselect_b32 s55, 1.0, 0xff7fffff
	s_xor_b32 s56, s49, 0x80000000
.LBB3_28:                               ;   Parent Loop BB3_27 Depth=1
                                        ; =>  This Inner Loop Header: Depth=2
	global_load_b128 v[112:115], v117, s[44:45] offset:-8
	s_wait_alu 0xfffe
	s_add_nc_u64 s[44:45], s[44:45], 16
	s_wait_loadcnt 0x0
	v_ashrrev_i32_e32 v109, 31, v115
	v_dual_mov_b32 v108, v115 :: v_dual_sub_f32 v115, v120, v114
	v_dual_sub_f32 v104, v118, v112 :: v_dual_sub_f32 v149, v128, v113
	v_dual_sub_f32 v106, v119, v113 :: v_dual_sub_f32 v145, v124, v112
	s_delay_alu instid0(VALU_DEP_3) | instskip(SKIP_3) | instid1(VALU_DEP_4)
	v_lshlrev_b64_e32 v[108:109], 4, v[108:109]
	v_dual_sub_f32 v142, v121, v112 :: v_dual_sub_f32 v143, v122, v113
	v_dual_sub_f32 v146, v125, v113 :: v_dual_sub_f32 v147, v126, v114
	;; [unrolled: 1-line block ×3, first 2 shown]
	v_add_co_u32 v108, vcc_lo, s42, v108
	s_wait_alu 0xfffd
	v_add_co_ci_u32_e64 v109, null, s43, v109, vcc_lo
	v_dual_sub_f32 v148, v127, v112 :: v_dual_sub_f32 v153, v132, v114
	v_dual_sub_f32 v150, v129, v114 :: v_dual_sub_f32 v155, v134, v113
	global_load_b128 v[108:111], v[108:109], off
	v_dual_sub_f32 v152, v131, v113 :: v_dual_sub_f32 v157, v136, v112
	v_dual_sub_f32 v154, v133, v112 :: v_dual_sub_f32 v159, v138, v114
	v_sub_f32_e32 v156, v135, v114
	v_dual_sub_f32 v158, v137, v113 :: v_dual_mul_f32 v143, v143, v143
	v_dual_sub_f32 v112, v139, v112 :: v_dual_mul_f32 v149, v149, v149
	;; [unrolled: 1-line block ×3, first 2 shown]
	v_mul_f32_e32 v146, v146, v146
	v_dual_sub_f32 v114, v141, v114 :: v_dual_mul_f32 v155, v155, v155
	v_dual_mul_f32 v152, v152, v152 :: v_dual_fmac_f32 v143, v142, v142
	s_delay_alu instid0(VALU_DEP_4) | instskip(NEXT) | instid1(VALU_DEP_3)
	v_dual_mul_f32 v113, v113, v113 :: v_dual_fmac_f32 v106, v104, v104
	v_fmac_f32_e32 v155, v154, v154
	v_dual_fmac_f32 v149, v148, v148 :: v_dual_fmac_f32 v146, v145, v145
	s_delay_alu instid0(VALU_DEP_4) | instskip(NEXT) | instid1(VALU_DEP_4)
	v_dual_fmac_f32 v143, v144, v144 :: v_dual_mul_f32 v158, v158, v158
	v_dual_fmac_f32 v113, v112, v112 :: v_dual_fmac_f32 v152, v151, v151
	s_delay_alu instid0(VALU_DEP_3) | instskip(NEXT) | instid1(VALU_DEP_2)
	v_dual_fmac_f32 v149, v150, v150 :: v_dual_fmac_f32 v106, v115, v115
	v_dual_fmac_f32 v146, v147, v147 :: v_dual_fmac_f32 v113, v114, v114
	s_delay_alu instid0(VALU_DEP_4) | instskip(SKIP_1) | instid1(VALU_DEP_4)
	v_mul_f32_e32 v112, 0x4f800000, v143
	v_cmp_gt_f32_e32 vcc_lo, 0xf800000, v143
	v_dual_mul_f32 v104, 0x4f800000, v106 :: v_dual_mul_f32 v115, 0x4f800000, v149
	s_delay_alu instid0(VALU_DEP_4)
	v_mul_f32_e32 v114, 0x4f800000, v146
	v_cmp_gt_f32_e64 s0, 0xf800000, v146
	v_cmp_gt_f32_e64 s5, 0xf800000, v106
	v_dual_fmac_f32 v158, v157, v157 :: v_dual_fmac_f32 v155, v156, v156
	v_mul_f32_e32 v147, 0x4f800000, v113
	v_cmp_gt_f32_e64 s1, 0xf800000, v149
	s_wait_alu 0xf1ff
	v_cndmask_b32_e64 v104, v106, v104, s5
	s_wait_alu 0xfffd
	v_cndmask_b32_e32 v106, v143, v112, vcc_lo
	v_cndmask_b32_e64 v112, v146, v114, s0
	v_fmac_f32_e32 v158, v159, v159
	v_fmac_f32_e32 v152, v153, v153
	v_cndmask_b32_e64 v114, v149, v115, s1
	v_cmp_gt_f32_e64 s7, 0xf800000, v113
	v_sqrt_f32_e32 v146, v112
	s_delay_alu instid0(VALU_DEP_3)
	v_dual_mul_f32 v145, 0x4f800000, v158 :: v_dual_mul_f32 v142, 0x4f800000, v152
	v_cmp_gt_f32_e64 s3, 0xf800000, v152
	v_cmp_gt_f32_e64 s4, 0xf800000, v155
	s_wait_alu 0xf1ff
	v_cndmask_b32_e64 v113, v113, v147, s7
	v_sqrt_f32_e32 v147, v114
	v_cmp_gt_f32_e64 s6, 0xf800000, v158
	v_cmp_class_f32_e64 s9, v112, 0x260
	v_cmp_class_f32_e64 s10, v114, 0x260
	v_add_nc_u32_e32 v157, 1, v146
	v_cndmask_b32_e64 v115, v152, v142, s3
	s_wait_alu 0xf1ff
	v_cndmask_b32_e64 v143, v158, v145, s6
	v_sqrt_f32_e32 v151, v113
	v_cmp_class_f32_e64 s14, v113, 0x260
	v_fma_f32 v173, -v157, v146, v112
	v_sqrt_f32_e32 v148, v115
	v_mul_f32_e32 v144, 0x4f800000, v155
	v_add_nc_u32_e32 v158, -1, v147
	v_add_nc_u32_e32 v159, 1, v147
	v_sqrt_f32_e32 v150, v143
	v_cmp_lt_f32_e64 s20, 0, v173
	v_cmp_class_f32_e64 s13, v143, 0x260
	v_fma_f32 v174, -v158, v147, v114
	v_fma_f32 v175, -v159, v147, v114
	v_cmp_class_f32_e64 s11, v115, 0x260
	v_add_nc_u32_e32 v161, 1, v148
	v_cndmask_b32_e64 v142, v155, v144, s4
	v_cmp_ge_f32_e64 s21, 0, v174
	v_cmp_lt_f32_e64 s22, 0, v175
	v_sqrt_f32_e32 v144, v104
	v_add_nc_u32_e32 v164, -1, v150
	v_sqrt_f32_e32 v149, v142
	s_wait_alu 0xf1ff
	v_cndmask_b32_e64 v147, v147, v158, s21
	v_fma_f32 v177, -v161, v148, v115
	v_cmp_class_f32_e64 s12, v142, 0x260
	v_cmp_class_f32_e64 s15, v104, 0x260
	s_delay_alu instid0(VALU_DEP_4) | instskip(NEXT) | instid1(VALU_DEP_4)
	v_cndmask_b32_e64 v147, v147, v159, s22
	v_cmp_lt_f32_e64 s24, 0, v177
	v_add_nc_u32_e32 v153, 1, v144
	s_delay_alu instid0(TRANS32_DEP_1) | instskip(SKIP_2) | instid1(VALU_DEP_3)
	v_add_nc_u32_e32 v163, 1, v149
	v_sqrt_f32_e32 v145, v106
	v_add_nc_u32_e32 v162, -1, v149
	v_fma_f32 v169, -v153, v144, v104
	v_cmp_class_f32_e64 s8, v106, 0x260
	v_fma_f32 v179, -v163, v149, v142
	s_delay_alu instid0(VALU_DEP_4) | instskip(NEXT) | instid1(VALU_DEP_4)
	v_fma_f32 v178, -v162, v149, v142
	v_cmp_lt_f32_e64 s31, 0, v169
	s_delay_alu instid0(VALU_DEP_3) | instskip(NEXT) | instid1(TRANS32_DEP_1)
	v_cmp_lt_f32_e64 s26, 0, v179
	v_add_nc_u32_e32 v154, -1, v145
	v_add_nc_u32_e32 v155, 1, v145
	v_cmp_ge_f32_e64 s25, 0, v178
	s_delay_alu instid0(VALU_DEP_3) | instskip(NEXT) | instid1(VALU_DEP_3)
	v_fma_f32 v170, -v154, v145, v106
	v_fma_f32 v171, -v155, v145, v106
	s_wait_alu 0xf1ff
	s_delay_alu instid0(VALU_DEP_3) | instskip(NEXT) | instid1(VALU_DEP_3)
	v_cndmask_b32_e64 v149, v149, v162, s25
	v_cmp_ge_f32_e64 s17, 0, v170
	s_delay_alu instid0(VALU_DEP_3) | instskip(NEXT) | instid1(VALU_DEP_3)
	v_cmp_lt_f32_e64 s18, 0, v171
	v_cndmask_b32_e64 v149, v149, v163, s26
	v_add_nc_u32_e32 v156, -1, v146
	s_wait_alu 0xf1ff
	v_cndmask_b32_e64 v145, v145, v154, s17
	s_delay_alu instid0(VALU_DEP_2) | instskip(NEXT) | instid1(VALU_DEP_2)
	v_fma_f32 v172, -v156, v146, v112
	v_cndmask_b32_e64 v145, v145, v155, s18
	v_dual_mul_f32 v155, 0x37800000, v147 :: v_dual_add_nc_u32 v152, -1, v144
	s_delay_alu instid0(VALU_DEP_3) | instskip(NEXT) | instid1(VALU_DEP_2)
	v_cmp_ge_f32_e64 s19, 0, v172
	v_fma_f32 v168, -v152, v144, v104
	s_delay_alu instid0(VALU_DEP_3) | instskip(SKIP_1) | instid1(VALU_DEP_3)
	v_cndmask_b32_e64 v147, v147, v155, s1
	s_wait_alu 0xf1ff
	v_cndmask_b32_e64 v146, v146, v156, s19
	s_delay_alu instid0(VALU_DEP_3) | instskip(NEXT) | instid1(VALU_DEP_3)
	v_cmp_ge_f32_e64 s16, 0, v168
	v_cndmask_b32_e64 v114, v147, v114, s10
	s_delay_alu instid0(VALU_DEP_3)
	v_cndmask_b32_e64 v146, v146, v157, s20
	v_add_nc_u32_e32 v167, 1, v151
	v_mul_f32_e32 v157, 0x37800000, v149
	s_wait_alu 0xf1ff
	v_cndmask_b32_e64 v144, v144, v152, s16
	v_mul_f32_e32 v154, 0x37800000, v146
	v_fma_f32 v183, -v167, v151, v113
	v_cndmask_b32_e64 v149, v149, v157, s4
	s_delay_alu instid0(VALU_DEP_4) | instskip(SKIP_4) | instid1(VALU_DEP_4)
	v_cndmask_b32_e64 v144, v144, v153, s31
	v_mul_f32_e32 v153, 0x37800000, v145
	v_add_nc_u32_e32 v165, 1, v150
	v_cmp_lt_f32_e64 s30, 0, v183
	v_cndmask_b32_e64 v146, v146, v154, s0
	v_dual_mul_f32 v152, 0x37800000, v144 :: v_dual_cndmask_b32 v145, v145, v153
	s_delay_alu instid0(VALU_DEP_4) | instskip(SKIP_1) | instid1(VALU_DEP_4)
	v_fma_f32 v181, -v165, v150, v143
	v_cndmask_b32_e64 v142, v149, v142, s12
	v_cndmask_b32_e64 v112, v146, v112, s9
	s_delay_alu instid0(VALU_DEP_4) | instskip(SKIP_2) | instid1(VALU_DEP_3)
	v_cndmask_b32_e64 v144, v144, v152, s5
	v_cndmask_b32_e64 v106, v145, v106, s8
	v_cmp_lt_f32_e64 s28, 0, v181
	v_cndmask_b32_e64 v104, v144, v104, s15
	s_wait_loadcnt 0x0
	v_dual_add_f32 v109, v105, v109 :: v_dual_add_nc_u32 v166, -1, v151
	v_fma_f32 v180, -v164, v150, v143
	v_readfirstlane_b32 s9, v108
	v_readfirstlane_b32 s18, v110
	s_delay_alu instid0(VALU_DEP_4)
	v_sub_f32_e32 v145, v106, v109
	v_fma_f32 v182, -v166, v151, v113
	v_cmp_ge_f32_e64 s27, 0, v180
	s_cmp_eq_u32 s9, 0x46
	v_sub_f32_e32 v146, v112, v109
	s_cselect_b32 s0, -1, 0
	v_cmp_ge_f32_e64 s29, 0, v182
	v_cndmask_b32_e64 v150, v150, v164, s27
	s_wait_alu 0xfffe
	s_and_b32 s10, s0, s51
	v_div_scale_f32 v110, null, v109, v109, 1.0
	v_cndmask_b32_e64 v151, v151, v166, s29
	v_cndmask_b32_e64 v150, v150, v165, s28
	v_sub_f32_e32 v149, v142, v109
	s_wait_alu 0xfffe
	s_and_b32 s10, s10, exec_lo
	s_cselect_b32 s16, 4.0, 2.0
	v_cndmask_b32_e64 v151, v151, v167, s30
	v_add_nc_u32_e32 v160, -1, v148
	v_mul_f32_e32 v158, 0x37800000, v150
	s_cselect_b32 s17, 0x3e800000, 0.5
	s_cmp_eq_u32 s9, 0x45
	v_mul_f32_e32 v159, 0x37800000, v151
	v_fma_f32 v176, -v160, v148, v115
	v_cndmask_b32_e64 v150, v150, v158, s6
	s_wait_alu 0xfffe
	v_fma_f32 v155, -s17, v146, 1.0
	s_cselect_b32 s19, -1, 0
	v_cndmask_b32_e64 v151, v151, v159, s7
	v_cmp_ge_f32_e64 s23, 0, v176
	v_cndmask_b32_e64 v143, v150, v143, s13
	v_fma_f32 v154, -s17, v145, 1.0
	v_fma_f32 v158, -s17, v149, 1.0
	v_cndmask_b32_e64 v113, v151, v113, s14
	s_wait_alu 0xf1ff
	v_cndmask_b32_e64 v148, v148, v160, s23
	v_mul_f32_e32 v108, v107, v111
	v_xor_b32_e32 v152, 0x80000000, v110
	v_rcp_f32_e32 v110, v110
	v_sub_f32_e32 v147, v114, v109
	v_cndmask_b32_e64 v148, v148, v161, s24
	v_sub_f32_e32 v151, v113, v109
	v_sub_f32_e32 v150, v143, v109
	v_cmp_gt_f32_e64 s10, s16, v145
	v_cmp_gt_f32_e64 s1, 0, v145
	v_mul_f32_e32 v156, 0x37800000, v148
	v_fma_f32 v160, -s17, v151, 1.0
	v_cmp_gt_f32_e64 s7, 0, v150
	v_fma_f32 v159, -s17, v150, 1.0
	v_cmp_gt_f32_e64 s15, s16, v150
	v_cndmask_b32_e64 v148, v148, v156, s3
	v_cmp_gt_f32_e64 s3, 0, v146
	v_fma_f32 v156, -s17, v147, 1.0
	s_wait_alu 0xf1ff
	v_cndmask_b32_e64 v159, v159, 1.0, s7
	v_cndmask_b32_e64 v175, 0, 1.0, s15
	v_cndmask_b32_e64 v115, v148, v115, s11
	v_cmp_gt_f32_e64 s11, s16, v146
	v_cndmask_b32_e64 v155, v155, 1.0, s3
	s_delay_alu instid0(VALU_DEP_4)
	v_dual_sub_f32 v144, v104, v109 :: v_dual_mul_f32 v159, v175, v159
	v_cmp_gt_f32_e64 s4, 0, v147
	s_wait_alu 0xf1ff
	v_cndmask_b32_e64 v171, 0, 1.0, s11
	v_cmp_gt_f32_e64 s6, 0, v149
	v_fma_f32 v153, -s17, v144, 1.0
	v_cmp_gt_f32_e64 s9, s16, v144
	v_cmp_gt_f32_e64 s0, 0, v144
	v_mul_f32_e32 v155, v171, v155
	v_sub_f32_e32 v148, v115, v109
	v_cmp_gt_f32_e64 s8, 0, v151
	s_wait_alu 0xf1ff
	v_cndmask_b32_e64 v169, 0, 1.0, s9
	v_cmp_gt_f32_e64 s12, s16, v147
	v_mul_f32_e32 v155, v108, v155
	v_fma_f32 v157, -s17, v148, 1.0
	s_wait_alu 0xfffe
	s_or_b32 s17, s19, s52
	s_cmp_gt_f32 s18, 0
	v_cmp_gt_f32_e64 s5, 0, v148
	v_cmp_gt_f32_e64 s13, s16, v148
	;; [unrolled: 1-line block ×3, first 2 shown]
	s_cselect_b32 s19, -1, 0
	s_cmp_neq_f32 s18, 0
	v_cmp_gt_f32_e64 s16, s16, v151
	v_cndmask_b32_e64 v170, 0, 1.0, s10
	v_cndmask_b32_e64 v172, 0, 1.0, s12
	s_cselect_b32 s20, -1, 0
	s_cmp_lt_f32 s18, 0
	v_cndmask_b32_e64 v173, 0, 1.0, s13
	v_cndmask_b32_e64 v174, 0, 1.0, s14
	v_cndmask_b32_e64 v176, 0, 1.0, s16
	s_cselect_b32 s9, -1, 0
	v_cndmask_b32_e64 v153, v153, 1.0, s0
	s_wait_alu 0xfffe
	s_and_b32 s10, s9, exec_lo
	s_cselect_b32 s21, s54, s55
	s_and_b32 s9, s9, s50
	s_xor_b32 s22, s18, 0x80000000
	s_wait_alu 0xfffe
	v_cmp_gt_f32_e64 s11, s21, v145
	s_and_b32 s9, s9, exec_lo
	v_cndmask_b32_e64 v154, v154, 1.0, s1
	v_cndmask_b32_e64 v156, v156, 1.0, s4
	;; [unrolled: 1-line block ×5, first 2 shown]
	v_fma_f32 v177, v152, v110, 1.0
	s_cselect_b32 s18, s22, s18
	s_and_b32 s19, s19, s53
	v_mul_f32_e32 v159, v108, v159
	s_wait_alu 0xfffe
	s_and_b32 s19, s19, exec_lo
	v_cmp_gt_f32_e64 s14, s21, v148
	v_cmp_gt_f32_e64 s16, s21, v150
	s_cselect_b32 s19, s56, s49
	s_and_b32 s11, s20, s11
	v_div_scale_f32 v111, vcc_lo, 1.0, v109, 1.0
	v_dual_mul_f32 v153, v169, v153 :: v_dual_mul_f32 v154, v170, v154
	v_dual_mul_f32 v156, v172, v156 :: v_dual_mul_f32 v157, v173, v157
	s_delay_alu instid0(VALU_DEP_2)
	v_dual_mul_f32 v158, v174, v158 :: v_dual_mul_f32 v153, v108, v153
	v_fmac_f32_e32 v110, v177, v110
	v_div_scale_f32 v169, null, s21, s21, 1.0
	s_wait_alu 0xfffe
	s_add_f32 s18, s18, s19
	v_cndmask_b32_e64 v173, 0, 1.0, s11
	v_mul_f32_e32 v160, v176, v160
	s_and_b32 s14, s20, s14
	s_and_b32 s16, s20, s16
	v_cndmask_b32_e64 v162, 0, 0x42980000, s1
	v_cndmask_b32_e64 v164, 0, 0x42980000, s4
	v_mul_f32_e32 v157, v108, v157
	v_xor_b32_e32 v172, 0x80000000, v169
	v_rcp_f32_e32 v169, v169
	v_mul_f32_e32 v158, v108, v158
	s_wait_alu 0xfffe
	v_cndmask_b32_e64 v176, 0, 1.0, s14
	v_mul_f32_e32 v154, v108, v154
	v_cndmask_b32_e64 v178, 0, 1.0, s16
	v_mul_f32_e32 v156, v108, v156
	v_mul_f32_e32 v108, v108, v160
	;; [unrolled: 1-line block ×3, first 2 shown]
	v_cmp_gt_f32_e64 s10, s21, v144
	v_cndmask_b32_e64 v168, 0, 0x42980000, s8
	v_cmp_gt_f32_e64 s12, s21, v146
	v_cmp_gt_f32_e64 s13, s21, v147
	v_fma_f32 v171, v152, v160, v111
	s_and_b32 s10, s20, s10
	v_cmp_gt_f32_e64 s15, s21, v149
	s_and_b32 s12, s20, s12
	s_and_b32 s13, s20, s13
	v_fmac_f32_e32 v160, v171, v110
	s_wait_alu 0xfffe
	v_cndmask_b32_e64 v171, 0, 1.0, s10
	s_and_b32 s15, s20, s15
	v_cndmask_b32_e64 v174, 0, 1.0, s12
	v_cndmask_b32_e64 v175, 0, 1.0, s13
	s_delay_alu instid0(VALU_DEP_3)
	v_dual_fmac_f32 v111, v152, v160 :: v_dual_mul_f32 v152, s18, v171
	s_wait_alu 0xfffe
	v_cndmask_b32_e64 v177, 0, 1.0, s15
	v_cndmask_b32_e64 v166, 0, 0x42980000, s6
	v_cndmask_b32_e64 v153, v153, -|v153|, s17
	s_wait_alu 0xfffd
	v_div_fmas_f32 v110, v111, v110, v160
	v_cndmask_b32_e64 v155, v155, -|v155|, s17
	v_cndmask_b32_e64 v157, v157, -|v157|, s17
	;; [unrolled: 1-line block ×4, first 2 shown]
	v_div_fixup_f32 v109, v110, v109, 1.0
	v_mul_f32_e32 v171, s18, v173
	v_mul_f32_e32 v173, s18, v174
	v_div_scale_f32 v170, s9, 1.0, s21, 1.0
	s_delay_alu instid0(VALU_DEP_4)
	v_fma_f32 v106, -v109, v106, 1.0
	v_fma_f32 v111, -v109, v112, 1.0
	;; [unrolled: 1-line block ×5, first 2 shown]
	v_dual_mul_f32 v174, s18, v175 :: v_dual_mul_f32 v175, s18, v176
	v_cndmask_b32_e64 v154, v154, -|v154|, s17
	v_fmac_f32_e32 v5, v106, v162
	v_cndmask_b32_e64 v108, v108, -|v108|, s17
	v_dual_mul_f32 v176, s18, v177 :: v_dual_mul_f32 v177, s18, v178
	v_cndmask_b32_e64 v156, v156, -|v156|, s17
	v_cmp_gt_f32_e64 s17, s21, v151
	v_fmac_f32_e32 v7, v112, v164
	v_fma_f32 v104, -v109, v104, 1.0
	v_fma_f32 v142, -v109, v143, 1.0
	;; [unrolled: 1-line block ×3, first 2 shown]
	s_and_b32 s17, s20, s17
	v_fmac_f32_e32 v1, v115, v166
	s_wait_alu 0xfffe
	v_cndmask_b32_e64 v179, 0, 1.0, s17
	v_cndmask_b32_e64 v161, 0, 0x42980000, s0
	v_fmac_f32_e32 v3, v109, v168
	v_fmac_f32_e32 v7, 0x42340000, v156
	s_delay_alu instid0(VALU_DEP_4) | instskip(SKIP_1) | instid1(VALU_DEP_4)
	v_dual_fmac_f32 v1, 0x42340000, v158 :: v_dual_mul_f32 v178, s18, v179
	v_fma_f32 v179, v172, v169, 1.0
	v_dual_fmac_f32 v4, v104, v161 :: v_dual_fmac_f32 v3, 0x42340000, v108
	s_mov_b32 vcc_lo, s9
	v_cndmask_b32_e64 v163, 0, 0x42980000, s3
	s_delay_alu instid0(VALU_DEP_3) | instskip(SKIP_3) | instid1(VALU_DEP_4)
	v_fmac_f32_e32 v169, v179, v169
	v_cndmask_b32_e64 v165, 0, 0x42980000, s5
	v_cndmask_b32_e64 v167, 0, 0x42980000, s7
	v_dual_fmac_f32 v5, 0x42340000, v154 :: v_dual_fmac_f32 v4, 0x42340000, v153
	v_mul_f32_e32 v110, v170, v169
	s_add_co_i32 s48, s48, -1
	s_wait_alu 0xfffe
	s_cmp_lg_u32 s48, 0
	s_delay_alu instid0(VALU_DEP_1) | instskip(NEXT) | instid1(VALU_DEP_1)
	v_fma_f32 v113, v172, v110, v170
	v_fmac_f32_e32 v110, v113, v169
	s_delay_alu instid0(VALU_DEP_1) | instskip(NEXT) | instid1(VALU_DEP_1)
	v_fmac_f32_e32 v170, v172, v110
	v_div_fmas_f32 v104, v170, v169, v110
	s_delay_alu instid0(VALU_DEP_1) | instskip(NEXT) | instid1(VALU_DEP_1)
	v_div_fixup_f32 v104, v104, s21, 1.0
	v_fma_f32 v108, -v104, v145, 1.0
	v_fma_f32 v110, -v104, v147, 1.0
	;; [unrolled: 1-line block ×6, first 2 shown]
	v_cndmask_b32_e64 v108, v108, 1.0, s1
	v_fmac_f32_e32 v0, v114, v165
	v_cndmask_b32_e64 v110, v110, 1.0, s4
	v_fmac_f32_e32 v6, v111, v163
	v_fma_f32 v111, -v104, v148, 1.0
	v_fma_f32 v104, -v104, v151, 1.0
	v_cndmask_b32_e64 v112, v112, 1.0, s6
	v_fmac_f32_e32 v2, v142, v167
	v_cndmask_b32_e64 v106, v106, 1.0, s0
	v_cndmask_b32_e64 v109, v109, 1.0, s3
	;; [unrolled: 1-line block ×5, first 2 shown]
	v_dual_fmac_f32 v5, v108, v171 :: v_dual_fmac_f32 v0, 0x42340000, v157
	v_dual_fmac_f32 v7, v110, v174 :: v_dual_fmac_f32 v6, 0x42340000, v155
	;; [unrolled: 1-line block ×3, first 2 shown]
	v_fmac_f32_e32 v4, v106, v152
	s_delay_alu instid0(VALU_DEP_4) | instskip(NEXT) | instid1(VALU_DEP_4)
	v_fmac_f32_e32 v0, v111, v175
	v_dual_fmac_f32 v6, v109, v173 :: v_dual_fmac_f32 v3, v104, v178
	s_delay_alu instid0(VALU_DEP_4)
	v_fmac_f32_e32 v2, v113, v177
	s_cbranch_scc1 .LBB3_28
; %bb.29:                               ;   in Loop: Header=BB3_27 Depth=1
	s_add_co_i32 s34, s34, 1
	s_delay_alu instid0(SALU_CYCLE_1)
	s_cmp_lg_u32 s34, s47
	s_cbranch_scc1 .LBB3_27
; %bb.30:
	s_clause 0x1
	scratch_store_b128 off, v[4:7], off
	scratch_store_b128 off, v[0:3], off offset:16
	s_and_saveexec_b32 s0, s2
	s_cbranch_execz .LBB3_32
; %bb.31:
	v_dual_mov_b32 v117, 0 :: v_dual_mul_f32 v14, 0.5, v4
	v_dual_mul_f32 v15, 0.5, v5 :: v_dual_mul_f32 v6, 0.5, v6
	v_mul_f32_e32 v16, 0.5, v3
	s_delay_alu instid0(VALU_DEP_3) | instskip(SKIP_1) | instid1(VALU_DEP_1)
	v_lshlrev_b64_e32 v[8:9], 2, v[116:117]
	v_add_nc_u32_e32 v116, s33, v116
	v_lshlrev_b64_e32 v[4:5], 2, v[116:117]
	v_add_nc_u32_e32 v116, s33, v116
	s_delay_alu instid0(VALU_DEP_4) | instskip(SKIP_2) | instid1(VALU_DEP_3)
	v_add_co_u32 v8, vcc_lo, s40, v8
	s_wait_alu 0xfffd
	v_add_co_ci_u32_e64 v9, null, s41, v9, vcc_lo
	v_lshlrev_b64_e32 v[10:11], 2, v[116:117]
	v_add_co_u32 v4, vcc_lo, s40, v4
	s_wait_alu 0xfffd
	v_add_co_ci_u32_e64 v5, null, s41, v5, vcc_lo
	s_delay_alu instid0(VALU_DEP_3)
	v_add_co_u32 v10, vcc_lo, s40, v10
	s_wait_alu 0xfffd
	v_add_co_ci_u32_e64 v11, null, s41, v11, vcc_lo
	s_clause 0x2
	global_store_b32 v[8:9], v14, off
	global_store_b32 v[4:5], v15, off
	;; [unrolled: 1-line block ×3, first 2 shown]
	v_dual_mul_f32 v15, 0.5, v2 :: v_dual_add_nc_u32 v116, s33, v116
	v_mul_f32_e32 v14, 0.5, v7
	s_delay_alu instid0(VALU_DEP_2) | instskip(SKIP_1) | instid1(VALU_DEP_1)
	v_lshlrev_b64_e32 v[12:13], 2, v[116:117]
	v_add_nc_u32_e32 v116, s33, v116
	v_lshlrev_b64_e32 v[4:5], 2, v[116:117]
	v_add_nc_u32_e32 v116, s33, v116
	s_delay_alu instid0(VALU_DEP_4) | instskip(SKIP_2) | instid1(VALU_DEP_3)
	v_add_co_u32 v6, vcc_lo, s40, v12
	s_wait_alu 0xfffd
	v_add_co_ci_u32_e64 v7, null, s41, v13, vcc_lo
	v_lshlrev_b64_e32 v[8:9], 2, v[116:117]
	v_add_nc_u32_e32 v116, s33, v116
	v_dual_mul_f32 v12, 0.5, v0 :: v_dual_mul_f32 v13, 0.5, v1
	v_add_co_u32 v4, vcc_lo, s40, v4
	s_delay_alu instid0(VALU_DEP_3) | instskip(SKIP_4) | instid1(VALU_DEP_3)
	v_lshlrev_b64_e32 v[0:1], 2, v[116:117]
	v_add_nc_u32_e32 v116, s33, v116
	s_wait_alu 0xfffd
	v_add_co_ci_u32_e64 v5, null, s41, v5, vcc_lo
	v_add_co_u32 v8, vcc_lo, s40, v8
	v_lshlrev_b64_e32 v[10:11], 2, v[116:117]
	s_wait_alu 0xfffd
	v_add_co_ci_u32_e64 v9, null, s41, v9, vcc_lo
	v_add_co_u32 v0, vcc_lo, s40, v0
	s_wait_alu 0xfffd
	v_add_co_ci_u32_e64 v1, null, s41, v1, vcc_lo
	v_add_co_u32 v2, vcc_lo, s40, v10
	s_wait_alu 0xfffd
	v_add_co_ci_u32_e64 v3, null, s41, v11, vcc_lo
	s_clause 0x4
	global_store_b32 v[6:7], v14, off
	global_store_b32 v[4:5], v12, off
	;; [unrolled: 1-line block ×5, first 2 shown]
.LBB3_32:
	s_nop 0
	s_sendmsg sendmsg(MSG_DEALLOC_VGPRS)
	s_endpgm
	.section	.rodata,"a",@progbits
	.p2align	6, 0x0
	.amdhsa_kernel _ZL11fasten_mainILm8EEviiPK4AtomS2_PKfS4_S4_S4_S4_S4_PfPK8FFParamsi
		.amdhsa_group_segment_fixed_size 0
		.amdhsa_private_segment_fixed_size 432
		.amdhsa_kernarg_size 352
		.amdhsa_user_sgpr_count 2
		.amdhsa_user_sgpr_dispatch_ptr 0
		.amdhsa_user_sgpr_queue_ptr 0
		.amdhsa_user_sgpr_kernarg_segment_ptr 1
		.amdhsa_user_sgpr_dispatch_id 0
		.amdhsa_user_sgpr_private_segment_size 0
		.amdhsa_wavefront_size32 1
		.amdhsa_uses_dynamic_stack 0
		.amdhsa_enable_private_segment 1
		.amdhsa_system_sgpr_workgroup_id_x 1
		.amdhsa_system_sgpr_workgroup_id_y 0
		.amdhsa_system_sgpr_workgroup_id_z 0
		.amdhsa_system_sgpr_workgroup_info 0
		.amdhsa_system_vgpr_workitem_id 0
		.amdhsa_next_free_vgpr 184
		.amdhsa_next_free_sgpr 57
		.amdhsa_reserve_vcc 1
		.amdhsa_float_round_mode_32 0
		.amdhsa_float_round_mode_16_64 0
		.amdhsa_float_denorm_mode_32 3
		.amdhsa_float_denorm_mode_16_64 3
		.amdhsa_fp16_overflow 0
		.amdhsa_workgroup_processor_mode 1
		.amdhsa_memory_ordered 1
		.amdhsa_forward_progress 1
		.amdhsa_inst_pref_size 80
		.amdhsa_round_robin_scheduling 0
		.amdhsa_exception_fp_ieee_invalid_op 0
		.amdhsa_exception_fp_denorm_src 0
		.amdhsa_exception_fp_ieee_div_zero 0
		.amdhsa_exception_fp_ieee_overflow 0
		.amdhsa_exception_fp_ieee_underflow 0
		.amdhsa_exception_fp_ieee_inexact 0
		.amdhsa_exception_int_div_zero 0
	.end_amdhsa_kernel
	.section	.text._ZL11fasten_mainILm8EEviiPK4AtomS2_PKfS4_S4_S4_S4_S4_PfPK8FFParamsi,"axG",@progbits,_ZL11fasten_mainILm8EEviiPK4AtomS2_PKfS4_S4_S4_S4_S4_PfPK8FFParamsi,comdat
.Lfunc_end3:
	.size	_ZL11fasten_mainILm8EEviiPK4AtomS2_PKfS4_S4_S4_S4_S4_PfPK8FFParamsi, .Lfunc_end3-_ZL11fasten_mainILm8EEviiPK4AtomS2_PKfS4_S4_S4_S4_S4_PfPK8FFParamsi
                                        ; -- End function
	.set _ZL11fasten_mainILm8EEviiPK4AtomS2_PKfS4_S4_S4_S4_S4_PfPK8FFParamsi.num_vgpr, 184
	.set _ZL11fasten_mainILm8EEviiPK4AtomS2_PKfS4_S4_S4_S4_S4_PfPK8FFParamsi.num_agpr, 0
	.set _ZL11fasten_mainILm8EEviiPK4AtomS2_PKfS4_S4_S4_S4_S4_PfPK8FFParamsi.numbered_sgpr, 57
	.set _ZL11fasten_mainILm8EEviiPK4AtomS2_PKfS4_S4_S4_S4_S4_PfPK8FFParamsi.num_named_barrier, 0
	.set _ZL11fasten_mainILm8EEviiPK4AtomS2_PKfS4_S4_S4_S4_S4_PfPK8FFParamsi.private_seg_size, 432
	.set _ZL11fasten_mainILm8EEviiPK4AtomS2_PKfS4_S4_S4_S4_S4_PfPK8FFParamsi.uses_vcc, 1
	.set _ZL11fasten_mainILm8EEviiPK4AtomS2_PKfS4_S4_S4_S4_S4_PfPK8FFParamsi.uses_flat_scratch, 1
	.set _ZL11fasten_mainILm8EEviiPK4AtomS2_PKfS4_S4_S4_S4_S4_PfPK8FFParamsi.has_dyn_sized_stack, 0
	.set _ZL11fasten_mainILm8EEviiPK4AtomS2_PKfS4_S4_S4_S4_S4_PfPK8FFParamsi.has_recursion, 0
	.set _ZL11fasten_mainILm8EEviiPK4AtomS2_PKfS4_S4_S4_S4_S4_PfPK8FFParamsi.has_indirect_call, 0
	.section	.AMDGPU.csdata,"",@progbits
; Kernel info:
; codeLenInByte = 10172
; TotalNumSgprs: 59
; NumVgprs: 184
; ScratchSize: 432
; MemoryBound: 0
; FloatMode: 240
; IeeeMode: 1
; LDSByteSize: 0 bytes/workgroup (compile time only)
; SGPRBlocks: 0
; VGPRBlocks: 22
; NumSGPRsForWavesPerEU: 59
; NumVGPRsForWavesPerEU: 184
; Occupancy: 8
; WaveLimiterHint : 1
; COMPUTE_PGM_RSRC2:SCRATCH_EN: 1
; COMPUTE_PGM_RSRC2:USER_SGPR: 2
; COMPUTE_PGM_RSRC2:TRAP_HANDLER: 0
; COMPUTE_PGM_RSRC2:TGID_X_EN: 1
; COMPUTE_PGM_RSRC2:TGID_Y_EN: 0
; COMPUTE_PGM_RSRC2:TGID_Z_EN: 0
; COMPUTE_PGM_RSRC2:TIDIG_COMP_CNT: 0
	.section	.text._ZL11fasten_mainILm16EEviiPK4AtomS2_PKfS4_S4_S4_S4_S4_PfPK8FFParamsi,"axG",@progbits,_ZL11fasten_mainILm16EEviiPK4AtomS2_PKfS4_S4_S4_S4_S4_PfPK8FFParamsi,comdat
	.globl	_ZL11fasten_mainILm16EEviiPK4AtomS2_PKfS4_S4_S4_S4_S4_PfPK8FFParamsi ; -- Begin function _ZL11fasten_mainILm16EEviiPK4AtomS2_PKfS4_S4_S4_S4_S4_PfPK8FFParamsi
	.p2align	8
	.type	_ZL11fasten_mainILm16EEviiPK4AtomS2_PKfS4_S4_S4_S4_S4_PfPK8FFParamsi,@function
_ZL11fasten_mainILm16EEviiPK4AtomS2_PKfS4_S4_S4_S4_S4_PfPK8FFParamsi: ; @_ZL11fasten_mainILm16EEviiPK4AtomS2_PKfS4_S4_S4_S4_S4_PfPK8FFParamsi
; %bb.0:
	s_clause 0x2
	s_load_b32 s2, s[0:1], 0x6c
	s_load_b32 s3, s[0:1], 0x58
	s_load_b512 s[8:23], s[0:1], 0x8
	v_mov_b32_e32 v3, 0
	s_mov_b32 s5, 0
	s_mov_b32 s7, 0
	;; [unrolled: 1-line block ×5, first 2 shown]
	s_wait_kmcnt 0x0
	s_and_b32 s24, s2, 0xffff
	s_add_co_i32 s4, s3, -16
	s_mul_i32 s2, ttmp9, s24
	s_lshl_b32 s6, s24, 2
	v_lshl_add_u32 v86, s2, 4, v0
	s_delay_alu instid0(VALU_DEP_1) | instskip(SKIP_1) | instid1(VALU_DEP_1)
	v_cmp_gt_i32_e64 s2, s3, v86
	s_wait_alu 0xf1ff
	v_cndmask_b32_e64 v0, s4, v86, s2
	s_delay_alu instid0(VALU_DEP_1) | instskip(NEXT) | instid1(VALU_DEP_1)
	v_ashrrev_i32_e32 v1, 31, v0
	v_lshlrev_b64_e32 v[0:1], 2, v[0:1]
	s_branch .LBB4_2
.LBB4_1:                                ;   in Loop: Header=BB4_2 Depth=1
	s_wait_alu 0xfffe
	s_or_b32 exec_lo, exec_lo, s3
	v_add_co_u32 v20, vcc_lo, s18, v0
	s_wait_alu 0xfffd
	v_add_co_ci_u32_e64 v21, null, s19, v1, vcc_lo
	v_add_co_u32 v23, vcc_lo, s20, v0
	s_wait_alu 0xfffd
	v_add_co_ci_u32_e64 v24, null, s21, v1, vcc_lo
	;; [unrolled: 3-line block ×3, first 2 shown]
	global_load_b32 v20, v[20:21], off
	global_load_b32 v24, v[23:24], off
	;; [unrolled: 1-line block ×3, first 2 shown]
	v_dual_mul_f32 v34, v2, v2 :: v_dual_and_b32 v29, 1, v13
	v_dual_mul_f32 v30, v8, v8 :: v_dual_and_b32 v23, 1, v19
	v_dual_mul_f32 v32, v6, v6 :: v_dual_lshlrev_b32 v19, 30, v19
	v_mul_f32_e32 v25, v14, v14
	s_delay_alu instid0(VALU_DEP_4)
	v_fmaak_f32 v46, s26, v34, 0x3c0881c4
	v_dual_mul_f32 v21, v18, v18 :: v_dual_and_b32 v26, 1, v16
	v_lshlrev_b32_e32 v16, 30, v16
	v_mul_f32_e32 v27, v12, v12
	v_dual_fmaak_f32 v38, s26, v25, 0x3c0881c4 :: v_dual_and_b32 v33, 1, v7
	v_dual_fmaak_f32 v44, s26, v32, 0x3c0881c4 :: v_dual_and_b32 v35, 1, v22
	v_fmaak_f32 v46, v34, v46, 0xbe2aaa9d
	v_fmaak_f32 v45, s27, v32, 0xbab64f3b
	v_dual_fmaak_f32 v36, s26, v21, 0x3c0881c4 :: v_dual_and_b32 v31, 1, v10
	v_lshlrev_b32_e32 v10, 30, v10
	v_dual_fmaak_f32 v40, s26, v27, 0x3c0881c4 :: v_dual_lshlrev_b32 v13, 30, v13
	v_dual_fmaak_f32 v42, s26, v30, 0x3c0881c4 :: v_dual_lshlrev_b32 v7, 30, v7
	;; [unrolled: 1-line block ×3, first 2 shown]
	v_fmaak_f32 v38, v25, v38, 0xbe2aaa9d
	v_fmaak_f32 v44, v32, v44, 0xbe2aaa9d
	v_dual_mul_f32 v46, v34, v46 :: v_dual_fmaak_f32 v45, v32, v45, 0x3d2aabf7
	s_delay_alu instid0(VALU_DEP_3) | instskip(NEXT) | instid1(VALU_DEP_3)
	v_dual_fmaak_f32 v39, s27, v25, 0xbab64f3b :: v_dual_mul_f32 v38, v25, v38
	v_dual_fmaak_f32 v43, s27, v30, 0xbab64f3b :: v_dual_mul_f32 v44, v32, v44
	v_fmaak_f32 v36, v21, v36, 0xbe2aaa9d
	s_delay_alu instid0(VALU_DEP_3)
	v_dual_fmaak_f32 v37, v21, v37, 0x3d2aabf7 :: v_dual_fmac_f32 v14, v14, v38
	v_fmaak_f32 v40, v27, v40, 0xbe2aaa9d
	v_fmaak_f32 v41, s27, v27, 0xbab64f3b
	;; [unrolled: 1-line block ×3, first 2 shown]
	v_dual_fmac_f32 v2, v2, v46 :: v_dual_fmaak_f32 v45, v32, v45, 0xbf000004
	v_dual_mul_f32 v36, v21, v36 :: v_dual_and_b32 v19, 0x80000000, v19
	s_delay_alu instid0(VALU_DEP_3)
	v_dual_mul_f32 v42, v30, v42 :: v_dual_and_b32 v13, 0x80000000, v13
	v_dual_fmaak_f32 v39, v25, v39, 0x3d2aabf7 :: v_dual_mul_f32 v40, v27, v40
	v_dual_fmaak_f32 v41, v27, v41, 0x3d2aabf7 :: v_dual_fmac_f32 v6, v6, v44
	v_fma_f32 v32, v32, v45, 1.0
	v_fmaak_f32 v37, v21, v37, 0xbf000004
	v_dual_fmac_f32 v18, v18, v36 :: v_dual_and_b32 v7, 0x80000000, v7
	v_dual_fmac_f32 v8, v8, v42 :: v_dual_fmaak_f32 v39, v25, v39, 0xbf000004
	s_delay_alu instid0(VALU_DEP_3)
	v_fma_f32 v21, v21, v37, 1.0
	v_cmp_eq_u32_e32 vcc_lo, 0, v23
	v_fmaak_f32 v43, v30, v43, 0x3d2aabf7
	v_fmaak_f32 v41, v27, v41, 0xbf000004
	v_fma_f32 v25, v25, v39, 1.0
	v_dual_fmaak_f32 v47, s27, v34, 0xbab64f3b :: v_dual_fmac_f32 v12, v12, v40
	s_wait_alu 0xfffd
	v_cndmask_b32_e32 v18, v21, v18, vcc_lo
	v_cmp_eq_u32_e32 vcc_lo, 0, v26
	v_fmaak_f32 v43, v30, v43, 0xbf000004
	v_fma_f32 v27, v27, v41, 1.0
	v_xor_b32_e32 v5, v5, v4
	v_cmp_class_f32_e64 s3, v4, 0x1f8
	s_wait_alu 0xfffd
	v_cndmask_b32_e64 v14, -v14, v25, vcc_lo
	v_cmp_eq_u32_e32 vcc_lo, 0, v29
	v_fmaak_f32 v47, v34, v47, 0x3d2aabf7
	v_fma_f32 v30, v30, v43, 1.0
	v_xor_b32_e32 v17, v17, v15
	v_xor_b32_e32 v11, v11, v9
	s_wait_alu 0xfffd
	v_cndmask_b32_e32 v12, v27, v12, vcc_lo
	v_cmp_eq_u32_e32 vcc_lo, 0, v31
	v_cmp_class_f32_e64 s4, v15, 0x1f8
	v_xor3_b32 v17, v17, v19, v18
	s_add_co_i32 s28, s5, 64
	s_add_co_i32 s5, s5, 48
	s_wait_alu 0xfffd
	v_cndmask_b32_e64 v8, -v8, v30, vcc_lo
	v_cmp_eq_u32_e32 vcc_lo, 0, v33
	scratch_store_b32 off, v3, s7
	s_add_co_i32 s7, s7, 4
	s_wait_alu 0xfffe
	s_cmp_lg_u32 s5, 0x300
	s_wait_alu 0xfffd
	v_cndmask_b32_e32 v6, v32, v6, vcc_lo
	v_cmp_eq_u32_e32 vcc_lo, 0, v35
	s_delay_alu instid0(VALU_DEP_2) | instskip(SKIP_2) | instid1(VALU_DEP_3)
	v_xor3_b32 v4, v5, v7, v6
	v_cndmask_b32_e64 v5, 0x7fc00000, v17, s4
	v_and_b32_e32 v22, 0x80000000, v22
	v_cndmask_b32_e64 v4, 0x7fc00000, v4, s3
	v_fmaak_f32 v47, v34, v47, 0xbf000004
	s_delay_alu instid0(VALU_DEP_1) | instskip(SKIP_1) | instid1(VALU_DEP_1)
	v_fma_f32 v34, v34, v47, 1.0
	s_wait_alu 0xfffd
	v_cndmask_b32_e64 v2, -v2, v34, vcc_lo
	v_cmp_class_f32_e64 vcc_lo, v9, 0x1f8
	v_xor3_b32 v9, v11, v13, v12
	s_delay_alu instid0(VALU_DEP_3) | instskip(SKIP_1) | instid1(VALU_DEP_2)
	v_xor_b32_e32 v2, v22, v2
	s_wait_alu 0xfffd
	v_cndmask_b32_e32 v7, 0x7fc00000, v9, vcc_lo
	v_and_b32_e32 v10, 0x80000000, v10
	s_delay_alu instid0(VALU_DEP_3) | instskip(NEXT) | instid1(VALU_DEP_3)
	v_cndmask_b32_e64 v2, 0x7fc00000, v2, s4
	v_dual_mul_f32 v9, v4, v7 :: v_dual_and_b32 v16, 0x80000000, v16
	s_delay_alu instid0(VALU_DEP_3) | instskip(SKIP_1) | instid1(VALU_DEP_4)
	v_xor_b32_e32 v8, v10, v8
	v_xor_b32_e32 v25, 0x80000000, v7
	v_mul_f32_e32 v12, v4, v2
	s_delay_alu instid0(VALU_DEP_4) | instskip(NEXT) | instid1(VALU_DEP_4)
	v_xor_b32_e32 v14, v16, v14
	v_cndmask_b32_e64 v8, 0x7fc00000, v8, s3
	s_delay_alu instid0(VALU_DEP_2) | instskip(SKIP_1) | instid1(VALU_DEP_3)
	v_cndmask_b32_e32 v6, 0x7fc00000, v14, vcc_lo
	v_add_co_u32 v0, vcc_lo, v0, s6
	v_mul_f32_e32 v10, v8, v7
	v_mul_f32_e32 v11, v8, v5
	;; [unrolled: 1-line block ×3, first 2 shown]
	s_wait_alu 0xfffd
	v_add_co_ci_u32_e64 v1, null, 0, v1, vcc_lo
	v_mul_f32_e32 v19, v10, v2
	v_mul_f32_e32 v17, v6, v2
	v_fma_f32 v18, v9, v2, -v11
	v_mul_f32_e32 v21, v6, v5
	v_fmac_f32_e32 v22, v9, v5
	v_fmac_f32_e32 v19, v4, v5
	v_fma_f32 v23, v10, v5, -v12
	v_mul_f32_e32 v26, v4, v6
	v_mul_f32_e32 v27, v8, v6
	s_wait_loadcnt 0x2
	scratch_store_b128 off, v[17:20], s28
	s_wait_loadcnt 0x1
	scratch_store_b128 off, v[21:24], s28 offset:16
	s_wait_loadcnt 0x0
	scratch_store_b128 off, v[25:28], s28 offset:32
	s_cbranch_scc0 .LBB4_26
.LBB4_2:                                ; =>This Inner Loop Header: Depth=1
	s_delay_alu instid0(VALU_DEP_1) | instskip(SKIP_1) | instid1(VALU_DEP_2)
	v_add_co_u32 v4, vcc_lo, s12, v0
	s_wait_alu 0xfffd
	v_add_co_ci_u32_e64 v5, null, s13, v1, vcc_lo
                                        ; implicit-def: $vgpr7
                                        ; implicit-def: $vgpr6
	global_load_b32 v4, v[4:5], off
	s_wait_loadcnt 0x0
	v_and_b32_e32 v5, 0x7fffffff, v4
	v_cmp_ngt_f32_e64 s28, 0x48000000, |v4|
	s_delay_alu instid0(VALU_DEP_2) | instskip(SKIP_1) | instid1(VALU_DEP_2)
	v_lshrrev_b32_e32 v2, 23, v5
	v_and_or_b32 v9, v5, s25, 0x800000
	v_add_nc_u32_e32 v11, 0xffffff88, v2
	s_and_saveexec_b32 s3, s28
	s_wait_alu 0xfffe
	s_xor_b32 s29, exec_lo, s3
	s_cbranch_execz .LBB4_4
; %bb.3:                                ;   in Loop: Header=BB4_2 Depth=1
	v_mad_co_u64_u32 v[6:7], null, 0xfe5163ab, v9, 0
	v_cmp_lt_u32_e32 vcc_lo, 63, v11
	s_delay_alu instid0(VALU_DEP_2) | instskip(NEXT) | instid1(VALU_DEP_1)
	v_mov_b32_e32 v2, v7
	v_mad_co_u64_u32 v[7:8], null, 0x3c439041, v9, v[2:3]
	s_delay_alu instid0(VALU_DEP_1) | instskip(SKIP_2) | instid1(VALU_DEP_2)
	v_mov_b32_e32 v2, v8
	s_wait_alu 0xfffd
	v_cndmask_b32_e64 v8, 0, 0xffffffc0, vcc_lo
	v_mad_co_u64_u32 v[12:13], null, 0xdb629599, v9, v[2:3]
	s_delay_alu instid0(VALU_DEP_2) | instskip(NEXT) | instid1(VALU_DEP_1)
	v_add_nc_u32_e32 v8, v8, v11
	v_cmp_lt_u32_e64 s3, 31, v8
	s_delay_alu instid0(VALU_DEP_3) | instskip(NEXT) | instid1(VALU_DEP_4)
	v_mov_b32_e32 v2, v13
	v_cndmask_b32_e32 v6, v12, v6, vcc_lo
	s_wait_alu 0xf1ff
	s_delay_alu instid0(VALU_DEP_3) | instskip(NEXT) | instid1(VALU_DEP_3)
	v_cndmask_b32_e64 v10, 0, 0xffffffe0, s3
	v_mad_co_u64_u32 v[13:14], null, 0xf534ddc0, v9, v[2:3]
	s_delay_alu instid0(VALU_DEP_2) | instskip(NEXT) | instid1(VALU_DEP_2)
	v_add_nc_u32_e32 v8, v10, v8
	v_mov_b32_e32 v2, v14
	s_delay_alu instid0(VALU_DEP_2) | instskip(NEXT) | instid1(VALU_DEP_4)
	v_cmp_lt_u32_e64 s4, 31, v8
	v_cndmask_b32_e32 v7, v13, v7, vcc_lo
	s_delay_alu instid0(VALU_DEP_3) | instskip(NEXT) | instid1(VALU_DEP_2)
	v_mad_co_u64_u32 v[14:15], null, 0xfc2757d1, v9, v[2:3]
	v_cndmask_b32_e64 v6, v7, v6, s3
	s_delay_alu instid0(VALU_DEP_2) | instskip(NEXT) | instid1(VALU_DEP_1)
	v_mov_b32_e32 v2, v15
	v_mad_co_u64_u32 v[15:16], null, 0x4e441529, v9, v[2:3]
	s_delay_alu instid0(VALU_DEP_1) | instskip(NEXT) | instid1(VALU_DEP_2)
	v_mov_b32_e32 v2, v16
	v_cndmask_b32_e32 v10, v15, v13, vcc_lo
	s_delay_alu instid0(VALU_DEP_2) | instskip(SKIP_2) | instid1(VALU_DEP_1)
	v_mad_co_u64_u32 v[16:17], null, 0xa2f9836e, v9, v[2:3]
	s_wait_alu 0xf1ff
	v_cndmask_b32_e64 v2, 0, 0xffffffe0, s4
	v_add_nc_u32_e32 v2, v2, v8
	s_delay_alu instid0(VALU_DEP_3) | instskip(SKIP_1) | instid1(VALU_DEP_3)
	v_dual_cndmask_b32 v16, v16, v14 :: v_dual_cndmask_b32 v15, v17, v15
	v_cndmask_b32_e32 v14, v14, v12, vcc_lo
	v_cmp_eq_u32_e32 vcc_lo, 0, v2
	s_delay_alu instid0(VALU_DEP_3) | instskip(NEXT) | instid1(VALU_DEP_4)
	v_cndmask_b32_e64 v8, v16, v10, s3
	v_cndmask_b32_e64 v13, v15, v16, s3
	s_delay_alu instid0(VALU_DEP_4) | instskip(SKIP_2) | instid1(VALU_DEP_4)
	v_cndmask_b32_e64 v10, v10, v14, s3
	v_sub_nc_u32_e32 v15, 32, v2
	v_cndmask_b32_e64 v14, v14, v7, s3
	v_cndmask_b32_e64 v13, v13, v8, s4
	s_delay_alu instid0(VALU_DEP_4) | instskip(NEXT) | instid1(VALU_DEP_3)
	v_cndmask_b32_e64 v8, v8, v10, s4
	v_cndmask_b32_e64 v10, v10, v14, s4
	;; [unrolled: 1-line block ×3, first 2 shown]
	s_delay_alu instid0(VALU_DEP_3) | instskip(NEXT) | instid1(VALU_DEP_3)
	v_alignbit_b32 v16, v13, v8, v15
	v_alignbit_b32 v12, v8, v10, v15
	s_delay_alu instid0(VALU_DEP_3) | instskip(SKIP_1) | instid1(VALU_DEP_3)
	v_alignbit_b32 v14, v10, v6, v15
	s_wait_alu 0xfffd
	v_cndmask_b32_e32 v2, v16, v13, vcc_lo
	s_delay_alu instid0(VALU_DEP_2) | instskip(NEXT) | instid1(VALU_DEP_2)
	v_dual_cndmask_b32 v7, v12, v8 :: v_dual_cndmask_b32 v10, v14, v10
	v_bfe_u32 v8, v2, 29, 1
	s_delay_alu instid0(VALU_DEP_2) | instskip(NEXT) | instid1(VALU_DEP_3)
	v_alignbit_b32 v12, v2, v7, 30
	v_alignbit_b32 v7, v7, v10, 30
	;; [unrolled: 1-line block ×3, first 2 shown]
	s_delay_alu instid0(VALU_DEP_4) | instskip(NEXT) | instid1(VALU_DEP_1)
	v_sub_nc_u32_e32 v13, 0, v8
	v_xor_b32_e32 v12, v12, v13
	s_delay_alu instid0(VALU_DEP_4) | instskip(NEXT) | instid1(VALU_DEP_4)
	v_xor_b32_e32 v7, v7, v13
	v_xor_b32_e32 v6, v6, v13
	v_lshrrev_b32_e32 v13, 29, v2
	v_lshrrev_b32_e32 v2, 30, v2
	v_clz_i32_u32_e32 v14, v12
	s_delay_alu instid0(VALU_DEP_1) | instskip(NEXT) | instid1(VALU_DEP_1)
	v_min_u32_e32 v14, 32, v14
	v_sub_nc_u32_e32 v10, 31, v14
	v_lshlrev_b32_e32 v15, 23, v14
	s_delay_alu instid0(VALU_DEP_2) | instskip(SKIP_2) | instid1(VALU_DEP_2)
	v_alignbit_b32 v12, v12, v7, v10
	v_alignbit_b32 v6, v7, v6, v10
	v_lshlrev_b32_e32 v7, 31, v13
	v_alignbit_b32 v10, v12, v6, 9
	s_delay_alu instid0(VALU_DEP_2) | instskip(SKIP_2) | instid1(VALU_DEP_4)
	v_or_b32_e32 v13, 0.5, v7
	v_lshrrev_b32_e32 v12, 9, v12
	v_or_b32_e32 v7, 0x33000000, v7
	v_clz_i32_u32_e32 v16, v10
	s_delay_alu instid0(VALU_DEP_4) | instskip(NEXT) | instid1(VALU_DEP_2)
	v_sub_nc_u32_e32 v13, v13, v15
	v_min_u32_e32 v15, 32, v16
	s_delay_alu instid0(VALU_DEP_2) | instskip(NEXT) | instid1(VALU_DEP_2)
	v_or_b32_e32 v12, v12, v13
	v_not_b32_e32 v13, v15
	s_delay_alu instid0(VALU_DEP_2) | instskip(SKIP_1) | instid1(VALU_DEP_3)
	v_mul_f32_e32 v16, 0x3fc90fda, v12
	v_add_lshl_u32 v14, v15, v14, 23
	v_alignbit_b32 v6, v10, v6, v13
	s_delay_alu instid0(VALU_DEP_3) | instskip(NEXT) | instid1(VALU_DEP_3)
	v_fma_f32 v10, 0x3fc90fda, v12, -v16
	v_sub_nc_u32_e32 v7, v7, v14
	s_delay_alu instid0(VALU_DEP_3) | instskip(NEXT) | instid1(VALU_DEP_3)
	v_lshrrev_b32_e32 v6, 9, v6
	v_fmac_f32_e32 v10, 0x33a22168, v12
	s_delay_alu instid0(VALU_DEP_2) | instskip(SKIP_1) | instid1(VALU_DEP_2)
	v_or_b32_e32 v6, v7, v6
	v_add_nc_u32_e32 v7, v8, v2
	v_fmac_f32_e32 v10, 0x3fc90fda, v6
	s_delay_alu instid0(VALU_DEP_1)
	v_add_f32_e32 v6, v16, v10
.LBB4_4:                                ;   in Loop: Header=BB4_2 Depth=1
	s_or_saveexec_b32 s3, s29
	v_mul_f32_e64 v2, 0x3f22f983, |v4|
	s_delay_alu instid0(VALU_DEP_1)
	v_rndne_f32_e32 v2, v2
	s_wait_alu 0xfffe
	s_xor_b32 exec_lo, exec_lo, s3
; %bb.5:                                ;   in Loop: Header=BB4_2 Depth=1
	s_delay_alu instid0(VALU_DEP_1) | instskip(SKIP_1) | instid1(VALU_DEP_2)
	v_fma_f32 v6, 0xbfc90fda, v2, |v4|
	v_cvt_i32_f32_e32 v7, v2
	v_fmac_f32_e32 v6, 0xb3a22168, v2
	s_delay_alu instid0(VALU_DEP_1)
	v_fmac_f32_e32 v6, 0xa7c234c4, v2
; %bb.6:                                ;   in Loop: Header=BB4_2 Depth=1
	s_or_b32 exec_lo, exec_lo, s3
                                        ; implicit-def: $vgpr10
                                        ; implicit-def: $vgpr8
	s_and_saveexec_b32 s3, s28
	s_wait_alu 0xfffe
	s_xor_b32 s28, exec_lo, s3
	s_cbranch_execz .LBB4_8
; %bb.7:                                ;   in Loop: Header=BB4_2 Depth=1
	v_mad_co_u64_u32 v[12:13], null, 0xfe5163ab, v9, 0
	v_cmp_lt_u32_e32 vcc_lo, 63, v11
	s_wait_alu 0xfffd
	v_cndmask_b32_e64 v8, 0, 0xffffffc0, vcc_lo
	s_delay_alu instid0(VALU_DEP_3) | instskip(NEXT) | instid1(VALU_DEP_2)
	v_mov_b32_e32 v2, v13
	v_add_nc_u32_e32 v8, v8, v11
	s_delay_alu instid0(VALU_DEP_2) | instskip(NEXT) | instid1(VALU_DEP_2)
	v_mad_co_u64_u32 v[13:14], null, 0x3c439041, v9, v[2:3]
	v_cmp_lt_u32_e64 s3, 31, v8
	s_delay_alu instid0(VALU_DEP_2) | instskip(NEXT) | instid1(VALU_DEP_1)
	v_mov_b32_e32 v2, v14
	v_mad_co_u64_u32 v[14:15], null, 0xdb629599, v9, v[2:3]
	s_delay_alu instid0(VALU_DEP_1) | instskip(NEXT) | instid1(VALU_DEP_2)
	v_mov_b32_e32 v2, v15
	v_cndmask_b32_e32 v12, v14, v12, vcc_lo
	s_delay_alu instid0(VALU_DEP_2) | instskip(NEXT) | instid1(VALU_DEP_1)
	v_mad_co_u64_u32 v[15:16], null, 0xf534ddc0, v9, v[2:3]
	v_mov_b32_e32 v2, v16
	s_delay_alu instid0(VALU_DEP_1) | instskip(NEXT) | instid1(VALU_DEP_1)
	v_mad_co_u64_u32 v[16:17], null, 0xfc2757d1, v9, v[2:3]
	v_mov_b32_e32 v2, v17
	s_wait_alu 0xf1ff
	v_cndmask_b32_e64 v17, 0, 0xffffffe0, s3
	s_delay_alu instid0(VALU_DEP_2) | instskip(NEXT) | instid1(VALU_DEP_1)
	v_mad_co_u64_u32 v[10:11], null, 0x4e441529, v9, v[2:3]
	v_dual_mov_b32 v2, v11 :: v_dual_add_nc_u32 v11, v17, v8
	s_delay_alu instid0(VALU_DEP_2) | instskip(NEXT) | instid1(VALU_DEP_2)
	v_cndmask_b32_e32 v17, v10, v15, vcc_lo
	v_mad_co_u64_u32 v[8:9], null, 0xa2f9836e, v9, v[2:3]
	s_delay_alu instid0(VALU_DEP_3) | instskip(SKIP_1) | instid1(VALU_DEP_1)
	v_cmp_lt_u32_e64 s4, 31, v11
	s_wait_alu 0xf1ff
	v_cndmask_b32_e64 v2, 0, 0xffffffe0, s4
	s_delay_alu instid0(VALU_DEP_3) | instskip(SKIP_1) | instid1(VALU_DEP_3)
	v_dual_cndmask_b32 v8, v8, v16 :: v_dual_cndmask_b32 v9, v9, v10
	v_cndmask_b32_e32 v10, v16, v14, vcc_lo
	v_dual_cndmask_b32 v11, v15, v13 :: v_dual_add_nc_u32 v2, v2, v11
	s_delay_alu instid0(VALU_DEP_3) | instskip(NEXT) | instid1(VALU_DEP_4)
	v_cndmask_b32_e64 v13, v8, v17, s3
	v_cndmask_b32_e64 v8, v9, v8, s3
	s_delay_alu instid0(VALU_DEP_4) | instskip(NEXT) | instid1(VALU_DEP_4)
	v_cndmask_b32_e64 v9, v17, v10, s3
	v_sub_nc_u32_e32 v15, 32, v2
	v_cndmask_b32_e64 v10, v10, v11, s3
	v_cmp_eq_u32_e32 vcc_lo, 0, v2
	v_cndmask_b32_e64 v8, v8, v13, s4
	v_cndmask_b32_e64 v13, v13, v9, s4
	s_delay_alu instid0(VALU_DEP_4) | instskip(NEXT) | instid1(VALU_DEP_2)
	v_cndmask_b32_e64 v9, v9, v10, s4
	v_alignbit_b32 v16, v8, v13, v15
	s_delay_alu instid0(VALU_DEP_2) | instskip(SKIP_1) | instid1(VALU_DEP_2)
	v_alignbit_b32 v14, v13, v9, v15
	s_wait_alu 0xfffd
	v_cndmask_b32_e32 v2, v16, v8, vcc_lo
	v_cndmask_b32_e64 v8, v11, v12, s3
	s_delay_alu instid0(VALU_DEP_3) | instskip(NEXT) | instid1(VALU_DEP_3)
	v_cndmask_b32_e32 v11, v14, v13, vcc_lo
	v_bfe_u32 v12, v2, 29, 1
	s_delay_alu instid0(VALU_DEP_3) | instskip(NEXT) | instid1(VALU_DEP_3)
	v_cndmask_b32_e64 v8, v10, v8, s4
	v_alignbit_b32 v10, v2, v11, 30
	s_delay_alu instid0(VALU_DEP_3) | instskip(NEXT) | instid1(VALU_DEP_3)
	v_sub_nc_u32_e32 v13, 0, v12
	v_alignbit_b32 v14, v9, v8, v15
	s_delay_alu instid0(VALU_DEP_2) | instskip(NEXT) | instid1(VALU_DEP_2)
	v_xor_b32_e32 v10, v10, v13
	v_cndmask_b32_e32 v9, v14, v9, vcc_lo
	s_delay_alu instid0(VALU_DEP_2) | instskip(NEXT) | instid1(VALU_DEP_2)
	v_clz_i32_u32_e32 v14, v10
	v_alignbit_b32 v11, v11, v9, 30
	v_alignbit_b32 v8, v9, v8, 30
	s_delay_alu instid0(VALU_DEP_3) | instskip(NEXT) | instid1(VALU_DEP_3)
	v_min_u32_e32 v14, 32, v14
	v_xor_b32_e32 v9, v11, v13
	s_delay_alu instid0(VALU_DEP_3) | instskip(SKIP_4) | instid1(VALU_DEP_2)
	v_xor_b32_e32 v8, v8, v13
	v_lshrrev_b32_e32 v13, 29, v2
	v_lshrrev_b32_e32 v2, 30, v2
	v_sub_nc_u32_e32 v11, 31, v14
	v_lshlrev_b32_e32 v15, 23, v14
	v_alignbit_b32 v10, v10, v9, v11
	v_alignbit_b32 v8, v9, v8, v11
	v_lshlrev_b32_e32 v9, 31, v13
	s_delay_alu instid0(VALU_DEP_2) | instskip(NEXT) | instid1(VALU_DEP_2)
	v_alignbit_b32 v11, v10, v8, 9
	v_or_b32_e32 v13, 0.5, v9
	v_lshrrev_b32_e32 v10, 9, v10
	v_or_b32_e32 v9, 0x33000000, v9
	s_delay_alu instid0(VALU_DEP_4) | instskip(NEXT) | instid1(VALU_DEP_4)
	v_clz_i32_u32_e32 v16, v11
	v_sub_nc_u32_e32 v13, v13, v15
	s_delay_alu instid0(VALU_DEP_2) | instskip(NEXT) | instid1(VALU_DEP_2)
	v_min_u32_e32 v15, 32, v16
	v_or_b32_e32 v10, v10, v13
	s_delay_alu instid0(VALU_DEP_2) | instskip(NEXT) | instid1(VALU_DEP_2)
	v_not_b32_e32 v13, v15
	v_mul_f32_e32 v16, 0x3fc90fda, v10
	v_add_lshl_u32 v14, v15, v14, 23
	s_delay_alu instid0(VALU_DEP_3) | instskip(NEXT) | instid1(VALU_DEP_3)
	v_alignbit_b32 v8, v11, v8, v13
	v_fma_f32 v11, 0x3fc90fda, v10, -v16
	s_delay_alu instid0(VALU_DEP_3) | instskip(NEXT) | instid1(VALU_DEP_3)
	v_sub_nc_u32_e32 v9, v9, v14
	v_lshrrev_b32_e32 v8, 9, v8
	s_delay_alu instid0(VALU_DEP_3) | instskip(SKIP_1) | instid1(VALU_DEP_3)
	v_fmac_f32_e32 v11, 0x33a22168, v10
	v_add_nc_u32_e32 v10, v12, v2
                                        ; implicit-def: $vgpr2
	v_or_b32_e32 v8, v9, v8
	s_delay_alu instid0(VALU_DEP_1) | instskip(NEXT) | instid1(VALU_DEP_1)
	v_fmac_f32_e32 v11, 0x3fc90fda, v8
	v_add_f32_e32 v8, v16, v11
	s_and_not1_saveexec_b32 s3, s28
	s_cbranch_execnz .LBB4_9
	s_branch .LBB4_10
.LBB4_8:                                ;   in Loop: Header=BB4_2 Depth=1
	s_and_not1_saveexec_b32 s3, s28
.LBB4_9:                                ;   in Loop: Header=BB4_2 Depth=1
	v_fma_f32 v8, 0xbfc90fda, v2, |v4|
	v_cvt_i32_f32_e32 v10, v2
	s_delay_alu instid0(VALU_DEP_2) | instskip(NEXT) | instid1(VALU_DEP_1)
	v_fmac_f32_e32 v8, 0xb3a22168, v2
	v_fmac_f32_e32 v8, 0xa7c234c4, v2
.LBB4_10:                               ;   in Loop: Header=BB4_2 Depth=1
	s_wait_alu 0xfffe
	s_or_b32 exec_lo, exec_lo, s3
	v_add_co_u32 v11, vcc_lo, s14, v0
	s_wait_alu 0xfffd
	v_add_co_ci_u32_e64 v12, null, s15, v1, vcc_lo
                                        ; implicit-def: $vgpr13
	global_load_b32 v9, v[11:12], off
                                        ; implicit-def: $vgpr12
	s_wait_loadcnt 0x0
	v_and_b32_e32 v11, 0x7fffffff, v9
	v_cmp_ngt_f32_e64 s28, 0x48000000, |v9|
	s_delay_alu instid0(VALU_DEP_2) | instskip(SKIP_1) | instid1(VALU_DEP_2)
	v_lshrrev_b32_e32 v2, 23, v11
	v_and_or_b32 v15, v11, s25, 0x800000
	v_add_nc_u32_e32 v17, 0xffffff88, v2
	s_and_saveexec_b32 s3, s28
	s_wait_alu 0xfffe
	s_xor_b32 s29, exec_lo, s3
	s_cbranch_execz .LBB4_12
; %bb.11:                               ;   in Loop: Header=BB4_2 Depth=1
	v_mad_co_u64_u32 v[12:13], null, 0xfe5163ab, v15, 0
	v_cmp_lt_u32_e32 vcc_lo, 63, v17
	s_delay_alu instid0(VALU_DEP_2) | instskip(NEXT) | instid1(VALU_DEP_1)
	v_mov_b32_e32 v2, v13
	v_mad_co_u64_u32 v[13:14], null, 0x3c439041, v15, v[2:3]
	s_delay_alu instid0(VALU_DEP_1) | instskip(SKIP_2) | instid1(VALU_DEP_2)
	v_mov_b32_e32 v2, v14
	s_wait_alu 0xfffd
	v_cndmask_b32_e64 v14, 0, 0xffffffc0, vcc_lo
	v_mad_co_u64_u32 v[18:19], null, 0xdb629599, v15, v[2:3]
	s_delay_alu instid0(VALU_DEP_2) | instskip(NEXT) | instid1(VALU_DEP_1)
	v_add_nc_u32_e32 v14, v14, v17
	v_cmp_lt_u32_e64 s3, 31, v14
	s_delay_alu instid0(VALU_DEP_3) | instskip(NEXT) | instid1(VALU_DEP_4)
	v_mov_b32_e32 v2, v19
	v_cndmask_b32_e32 v12, v18, v12, vcc_lo
	s_wait_alu 0xf1ff
	s_delay_alu instid0(VALU_DEP_3) | instskip(NEXT) | instid1(VALU_DEP_3)
	v_cndmask_b32_e64 v16, 0, 0xffffffe0, s3
	v_mad_co_u64_u32 v[19:20], null, 0xf534ddc0, v15, v[2:3]
	s_delay_alu instid0(VALU_DEP_2) | instskip(NEXT) | instid1(VALU_DEP_2)
	v_add_nc_u32_e32 v14, v16, v14
	v_mov_b32_e32 v2, v20
	s_delay_alu instid0(VALU_DEP_2) | instskip(NEXT) | instid1(VALU_DEP_4)
	v_cmp_lt_u32_e64 s4, 31, v14
	v_cndmask_b32_e32 v13, v19, v13, vcc_lo
	s_delay_alu instid0(VALU_DEP_3) | instskip(NEXT) | instid1(VALU_DEP_2)
	v_mad_co_u64_u32 v[20:21], null, 0xfc2757d1, v15, v[2:3]
	v_cndmask_b32_e64 v12, v13, v12, s3
	s_delay_alu instid0(VALU_DEP_2) | instskip(NEXT) | instid1(VALU_DEP_1)
	v_mov_b32_e32 v2, v21
	v_mad_co_u64_u32 v[21:22], null, 0x4e441529, v15, v[2:3]
	s_delay_alu instid0(VALU_DEP_1) | instskip(NEXT) | instid1(VALU_DEP_2)
	v_mov_b32_e32 v2, v22
	v_cndmask_b32_e32 v16, v21, v19, vcc_lo
	s_delay_alu instid0(VALU_DEP_2) | instskip(SKIP_2) | instid1(VALU_DEP_1)
	v_mad_co_u64_u32 v[22:23], null, 0xa2f9836e, v15, v[2:3]
	s_wait_alu 0xf1ff
	v_cndmask_b32_e64 v2, 0, 0xffffffe0, s4
	v_add_nc_u32_e32 v2, v2, v14
	s_delay_alu instid0(VALU_DEP_3) | instskip(SKIP_1) | instid1(VALU_DEP_3)
	v_dual_cndmask_b32 v22, v22, v20 :: v_dual_cndmask_b32 v21, v23, v21
	v_cndmask_b32_e32 v20, v20, v18, vcc_lo
	v_cmp_eq_u32_e32 vcc_lo, 0, v2
	s_delay_alu instid0(VALU_DEP_3) | instskip(NEXT) | instid1(VALU_DEP_4)
	v_cndmask_b32_e64 v14, v22, v16, s3
	v_cndmask_b32_e64 v19, v21, v22, s3
	s_delay_alu instid0(VALU_DEP_4) | instskip(SKIP_2) | instid1(VALU_DEP_4)
	v_cndmask_b32_e64 v16, v16, v20, s3
	v_sub_nc_u32_e32 v21, 32, v2
	v_cndmask_b32_e64 v20, v20, v13, s3
	v_cndmask_b32_e64 v19, v19, v14, s4
	s_delay_alu instid0(VALU_DEP_4) | instskip(NEXT) | instid1(VALU_DEP_3)
	v_cndmask_b32_e64 v14, v14, v16, s4
	v_cndmask_b32_e64 v16, v16, v20, s4
	;; [unrolled: 1-line block ×3, first 2 shown]
	s_delay_alu instid0(VALU_DEP_3) | instskip(NEXT) | instid1(VALU_DEP_3)
	v_alignbit_b32 v22, v19, v14, v21
	v_alignbit_b32 v18, v14, v16, v21
	s_delay_alu instid0(VALU_DEP_3) | instskip(SKIP_1) | instid1(VALU_DEP_3)
	v_alignbit_b32 v20, v16, v12, v21
	s_wait_alu 0xfffd
	v_cndmask_b32_e32 v2, v22, v19, vcc_lo
	s_delay_alu instid0(VALU_DEP_2) | instskip(NEXT) | instid1(VALU_DEP_2)
	v_dual_cndmask_b32 v13, v18, v14 :: v_dual_cndmask_b32 v16, v20, v16
	v_bfe_u32 v14, v2, 29, 1
	s_delay_alu instid0(VALU_DEP_2) | instskip(NEXT) | instid1(VALU_DEP_3)
	v_alignbit_b32 v18, v2, v13, 30
	v_alignbit_b32 v13, v13, v16, 30
	;; [unrolled: 1-line block ×3, first 2 shown]
	s_delay_alu instid0(VALU_DEP_4) | instskip(NEXT) | instid1(VALU_DEP_1)
	v_sub_nc_u32_e32 v19, 0, v14
	v_xor_b32_e32 v18, v18, v19
	s_delay_alu instid0(VALU_DEP_4) | instskip(NEXT) | instid1(VALU_DEP_4)
	v_xor_b32_e32 v13, v13, v19
	v_xor_b32_e32 v12, v12, v19
	v_lshrrev_b32_e32 v19, 29, v2
	v_lshrrev_b32_e32 v2, 30, v2
	v_clz_i32_u32_e32 v20, v18
	s_delay_alu instid0(VALU_DEP_1) | instskip(NEXT) | instid1(VALU_DEP_1)
	v_min_u32_e32 v20, 32, v20
	v_sub_nc_u32_e32 v16, 31, v20
	v_lshlrev_b32_e32 v21, 23, v20
	s_delay_alu instid0(VALU_DEP_2) | instskip(SKIP_2) | instid1(VALU_DEP_2)
	v_alignbit_b32 v18, v18, v13, v16
	v_alignbit_b32 v12, v13, v12, v16
	v_lshlrev_b32_e32 v13, 31, v19
	v_alignbit_b32 v16, v18, v12, 9
	s_delay_alu instid0(VALU_DEP_2) | instskip(SKIP_2) | instid1(VALU_DEP_4)
	v_or_b32_e32 v19, 0.5, v13
	v_lshrrev_b32_e32 v18, 9, v18
	v_or_b32_e32 v13, 0x33000000, v13
	v_clz_i32_u32_e32 v22, v16
	s_delay_alu instid0(VALU_DEP_4) | instskip(NEXT) | instid1(VALU_DEP_2)
	v_sub_nc_u32_e32 v19, v19, v21
	v_min_u32_e32 v21, 32, v22
	s_delay_alu instid0(VALU_DEP_2) | instskip(NEXT) | instid1(VALU_DEP_2)
	v_or_b32_e32 v18, v18, v19
	v_not_b32_e32 v19, v21
	s_delay_alu instid0(VALU_DEP_2) | instskip(SKIP_1) | instid1(VALU_DEP_3)
	v_mul_f32_e32 v22, 0x3fc90fda, v18
	v_add_lshl_u32 v20, v21, v20, 23
	v_alignbit_b32 v12, v16, v12, v19
	s_delay_alu instid0(VALU_DEP_3) | instskip(NEXT) | instid1(VALU_DEP_3)
	v_fma_f32 v16, 0x3fc90fda, v18, -v22
	v_sub_nc_u32_e32 v13, v13, v20
	s_delay_alu instid0(VALU_DEP_3) | instskip(NEXT) | instid1(VALU_DEP_3)
	v_lshrrev_b32_e32 v12, 9, v12
	v_fmac_f32_e32 v16, 0x33a22168, v18
	s_delay_alu instid0(VALU_DEP_2) | instskip(NEXT) | instid1(VALU_DEP_1)
	v_or_b32_e32 v12, v13, v12
	v_dual_fmac_f32 v16, 0x3fc90fda, v12 :: v_dual_add_nc_u32 v13, v14, v2
	s_delay_alu instid0(VALU_DEP_1)
	v_add_f32_e32 v12, v22, v16
.LBB4_12:                               ;   in Loop: Header=BB4_2 Depth=1
	s_or_saveexec_b32 s3, s29
	v_mul_f32_e64 v2, 0x3f22f983, |v9|
	s_delay_alu instid0(VALU_DEP_1)
	v_rndne_f32_e32 v2, v2
	s_wait_alu 0xfffe
	s_xor_b32 exec_lo, exec_lo, s3
; %bb.13:                               ;   in Loop: Header=BB4_2 Depth=1
	s_delay_alu instid0(VALU_DEP_1) | instskip(SKIP_1) | instid1(VALU_DEP_2)
	v_fma_f32 v12, 0xbfc90fda, v2, |v9|
	v_cvt_i32_f32_e32 v13, v2
	v_fmac_f32_e32 v12, 0xb3a22168, v2
	s_delay_alu instid0(VALU_DEP_1)
	v_fmac_f32_e32 v12, 0xa7c234c4, v2
; %bb.14:                               ;   in Loop: Header=BB4_2 Depth=1
	s_or_b32 exec_lo, exec_lo, s3
                                        ; implicit-def: $vgpr16
                                        ; implicit-def: $vgpr14
	s_and_saveexec_b32 s3, s28
	s_wait_alu 0xfffe
	s_xor_b32 s28, exec_lo, s3
	s_cbranch_execz .LBB4_16
; %bb.15:                               ;   in Loop: Header=BB4_2 Depth=1
	v_mad_co_u64_u32 v[18:19], null, 0xfe5163ab, v15, 0
	v_cmp_lt_u32_e32 vcc_lo, 63, v17
	s_wait_alu 0xfffd
	v_cndmask_b32_e64 v14, 0, 0xffffffc0, vcc_lo
	s_delay_alu instid0(VALU_DEP_3) | instskip(NEXT) | instid1(VALU_DEP_2)
	v_mov_b32_e32 v2, v19
	v_add_nc_u32_e32 v14, v14, v17
	s_delay_alu instid0(VALU_DEP_2) | instskip(NEXT) | instid1(VALU_DEP_2)
	v_mad_co_u64_u32 v[19:20], null, 0x3c439041, v15, v[2:3]
	v_cmp_lt_u32_e64 s3, 31, v14
	s_delay_alu instid0(VALU_DEP_2) | instskip(NEXT) | instid1(VALU_DEP_1)
	v_mov_b32_e32 v2, v20
	v_mad_co_u64_u32 v[20:21], null, 0xdb629599, v15, v[2:3]
	s_delay_alu instid0(VALU_DEP_1) | instskip(NEXT) | instid1(VALU_DEP_2)
	v_mov_b32_e32 v2, v21
	v_cndmask_b32_e32 v18, v20, v18, vcc_lo
	s_delay_alu instid0(VALU_DEP_2) | instskip(NEXT) | instid1(VALU_DEP_1)
	v_mad_co_u64_u32 v[21:22], null, 0xf534ddc0, v15, v[2:3]
	v_mov_b32_e32 v2, v22
	s_delay_alu instid0(VALU_DEP_1) | instskip(NEXT) | instid1(VALU_DEP_1)
	v_mad_co_u64_u32 v[22:23], null, 0xfc2757d1, v15, v[2:3]
	v_mov_b32_e32 v2, v23
	s_wait_alu 0xf1ff
	v_cndmask_b32_e64 v23, 0, 0xffffffe0, s3
	s_delay_alu instid0(VALU_DEP_2) | instskip(NEXT) | instid1(VALU_DEP_1)
	v_mad_co_u64_u32 v[16:17], null, 0x4e441529, v15, v[2:3]
	v_dual_mov_b32 v2, v17 :: v_dual_add_nc_u32 v17, v23, v14
	s_delay_alu instid0(VALU_DEP_2) | instskip(NEXT) | instid1(VALU_DEP_2)
	v_cndmask_b32_e32 v23, v16, v21, vcc_lo
	v_mad_co_u64_u32 v[14:15], null, 0xa2f9836e, v15, v[2:3]
	s_delay_alu instid0(VALU_DEP_3) | instskip(SKIP_1) | instid1(VALU_DEP_1)
	v_cmp_lt_u32_e64 s4, 31, v17
	s_wait_alu 0xf1ff
	v_cndmask_b32_e64 v2, 0, 0xffffffe0, s4
	s_delay_alu instid0(VALU_DEP_3) | instskip(SKIP_1) | instid1(VALU_DEP_3)
	v_dual_cndmask_b32 v14, v14, v22 :: v_dual_cndmask_b32 v15, v15, v16
	v_cndmask_b32_e32 v16, v22, v20, vcc_lo
	v_dual_cndmask_b32 v17, v21, v19 :: v_dual_add_nc_u32 v2, v2, v17
	s_delay_alu instid0(VALU_DEP_3) | instskip(NEXT) | instid1(VALU_DEP_4)
	v_cndmask_b32_e64 v19, v14, v23, s3
	v_cndmask_b32_e64 v14, v15, v14, s3
	s_delay_alu instid0(VALU_DEP_4) | instskip(NEXT) | instid1(VALU_DEP_4)
	v_cndmask_b32_e64 v15, v23, v16, s3
	v_sub_nc_u32_e32 v21, 32, v2
	v_cndmask_b32_e64 v16, v16, v17, s3
	v_cmp_eq_u32_e32 vcc_lo, 0, v2
	v_cndmask_b32_e64 v14, v14, v19, s4
	v_cndmask_b32_e64 v19, v19, v15, s4
	s_delay_alu instid0(VALU_DEP_4) | instskip(NEXT) | instid1(VALU_DEP_2)
	v_cndmask_b32_e64 v15, v15, v16, s4
	v_alignbit_b32 v22, v14, v19, v21
	s_delay_alu instid0(VALU_DEP_2) | instskip(SKIP_1) | instid1(VALU_DEP_2)
	v_alignbit_b32 v20, v19, v15, v21
	s_wait_alu 0xfffd
	v_cndmask_b32_e32 v2, v22, v14, vcc_lo
	v_cndmask_b32_e64 v14, v17, v18, s3
	s_delay_alu instid0(VALU_DEP_3) | instskip(NEXT) | instid1(VALU_DEP_3)
	v_cndmask_b32_e32 v17, v20, v19, vcc_lo
	v_bfe_u32 v18, v2, 29, 1
	s_delay_alu instid0(VALU_DEP_3) | instskip(NEXT) | instid1(VALU_DEP_3)
	v_cndmask_b32_e64 v14, v16, v14, s4
	v_alignbit_b32 v16, v2, v17, 30
	s_delay_alu instid0(VALU_DEP_3) | instskip(NEXT) | instid1(VALU_DEP_3)
	v_sub_nc_u32_e32 v19, 0, v18
	v_alignbit_b32 v20, v15, v14, v21
	s_delay_alu instid0(VALU_DEP_2) | instskip(NEXT) | instid1(VALU_DEP_2)
	v_xor_b32_e32 v16, v16, v19
	v_cndmask_b32_e32 v15, v20, v15, vcc_lo
	s_delay_alu instid0(VALU_DEP_2) | instskip(NEXT) | instid1(VALU_DEP_2)
	v_clz_i32_u32_e32 v20, v16
	v_alignbit_b32 v17, v17, v15, 30
	v_alignbit_b32 v14, v15, v14, 30
	s_delay_alu instid0(VALU_DEP_3) | instskip(NEXT) | instid1(VALU_DEP_3)
	v_min_u32_e32 v20, 32, v20
	v_xor_b32_e32 v15, v17, v19
	s_delay_alu instid0(VALU_DEP_3) | instskip(SKIP_4) | instid1(VALU_DEP_2)
	v_xor_b32_e32 v14, v14, v19
	v_lshrrev_b32_e32 v19, 29, v2
	v_lshrrev_b32_e32 v2, 30, v2
	v_sub_nc_u32_e32 v17, 31, v20
	v_lshlrev_b32_e32 v21, 23, v20
	v_alignbit_b32 v16, v16, v15, v17
	v_alignbit_b32 v14, v15, v14, v17
	v_lshlrev_b32_e32 v15, 31, v19
	s_delay_alu instid0(VALU_DEP_2) | instskip(NEXT) | instid1(VALU_DEP_2)
	v_alignbit_b32 v17, v16, v14, 9
	v_or_b32_e32 v19, 0.5, v15
	v_lshrrev_b32_e32 v16, 9, v16
	v_or_b32_e32 v15, 0x33000000, v15
	s_delay_alu instid0(VALU_DEP_4) | instskip(NEXT) | instid1(VALU_DEP_4)
	v_clz_i32_u32_e32 v22, v17
	v_sub_nc_u32_e32 v19, v19, v21
	s_delay_alu instid0(VALU_DEP_2) | instskip(NEXT) | instid1(VALU_DEP_2)
	v_min_u32_e32 v21, 32, v22
	v_or_b32_e32 v16, v16, v19
	s_delay_alu instid0(VALU_DEP_2) | instskip(NEXT) | instid1(VALU_DEP_2)
	v_not_b32_e32 v19, v21
	v_mul_f32_e32 v22, 0x3fc90fda, v16
	v_add_lshl_u32 v20, v21, v20, 23
	s_delay_alu instid0(VALU_DEP_3) | instskip(NEXT) | instid1(VALU_DEP_3)
	v_alignbit_b32 v14, v17, v14, v19
	v_fma_f32 v17, 0x3fc90fda, v16, -v22
	s_delay_alu instid0(VALU_DEP_3) | instskip(NEXT) | instid1(VALU_DEP_3)
	v_sub_nc_u32_e32 v15, v15, v20
	v_lshrrev_b32_e32 v14, 9, v14
	s_delay_alu instid0(VALU_DEP_3) | instskip(NEXT) | instid1(VALU_DEP_2)
	v_dual_fmac_f32 v17, 0x33a22168, v16 :: v_dual_add_nc_u32 v16, v18, v2
                                        ; implicit-def: $vgpr2
	v_or_b32_e32 v14, v15, v14
	s_delay_alu instid0(VALU_DEP_1) | instskip(NEXT) | instid1(VALU_DEP_1)
	v_fmac_f32_e32 v17, 0x3fc90fda, v14
	v_add_f32_e32 v14, v22, v17
	s_and_not1_saveexec_b32 s3, s28
	s_cbranch_execnz .LBB4_17
	s_branch .LBB4_18
.LBB4_16:                               ;   in Loop: Header=BB4_2 Depth=1
	s_and_not1_saveexec_b32 s3, s28
.LBB4_17:                               ;   in Loop: Header=BB4_2 Depth=1
	v_fma_f32 v14, 0xbfc90fda, v2, |v9|
	v_cvt_i32_f32_e32 v16, v2
	s_delay_alu instid0(VALU_DEP_2) | instskip(NEXT) | instid1(VALU_DEP_1)
	v_fmac_f32_e32 v14, 0xb3a22168, v2
	v_fmac_f32_e32 v14, 0xa7c234c4, v2
.LBB4_18:                               ;   in Loop: Header=BB4_2 Depth=1
	s_wait_alu 0xfffe
	s_or_b32 exec_lo, exec_lo, s3
	v_add_co_u32 v17, vcc_lo, s16, v0
	s_wait_alu 0xfffd
	v_add_co_ci_u32_e64 v18, null, s17, v1, vcc_lo
                                        ; implicit-def: $vgpr19
	global_load_b32 v15, v[17:18], off
                                        ; implicit-def: $vgpr18
	s_wait_loadcnt 0x0
	v_and_b32_e32 v17, 0x7fffffff, v15
	v_cmp_ngt_f32_e64 s28, 0x48000000, |v15|
	s_delay_alu instid0(VALU_DEP_2) | instskip(SKIP_1) | instid1(VALU_DEP_2)
	v_lshrrev_b32_e32 v2, 23, v17
	v_and_or_b32 v20, v17, s25, 0x800000
	v_add_nc_u32_e32 v21, 0xffffff88, v2
	s_and_saveexec_b32 s3, s28
	s_wait_alu 0xfffe
	s_xor_b32 s29, exec_lo, s3
	s_cbranch_execz .LBB4_20
; %bb.19:                               ;   in Loop: Header=BB4_2 Depth=1
	v_mad_co_u64_u32 v[18:19], null, 0xfe5163ab, v20, 0
	v_cmp_lt_u32_e32 vcc_lo, 63, v21
	s_delay_alu instid0(VALU_DEP_2) | instskip(SKIP_2) | instid1(VALU_DEP_1)
	v_mov_b32_e32 v2, v19
	s_wait_alu 0xfffd
	v_cndmask_b32_e64 v19, 0, 0xffffffc0, vcc_lo
	v_add_nc_u32_e32 v19, v19, v21
	s_delay_alu instid0(VALU_DEP_1) | instskip(SKIP_1) | instid1(VALU_DEP_1)
	v_cmp_lt_u32_e64 s3, 31, v19
	s_wait_alu 0xf1ff
	v_cndmask_b32_e64 v28, 0, 0xffffffe0, s3
	s_delay_alu instid0(VALU_DEP_1) | instskip(SKIP_1) | instid1(VALU_DEP_2)
	v_add_nc_u32_e32 v19, v28, v19
	v_mad_co_u64_u32 v[22:23], null, 0x3c439041, v20, v[2:3]
	v_cmp_lt_u32_e64 s4, 31, v19
	s_delay_alu instid0(VALU_DEP_2) | instskip(NEXT) | instid1(VALU_DEP_1)
	v_mov_b32_e32 v2, v23
	v_mad_co_u64_u32 v[23:24], null, 0xdb629599, v20, v[2:3]
	s_delay_alu instid0(VALU_DEP_1) | instskip(NEXT) | instid1(VALU_DEP_2)
	v_mov_b32_e32 v2, v24
	v_cndmask_b32_e32 v18, v23, v18, vcc_lo
	s_delay_alu instid0(VALU_DEP_2) | instskip(NEXT) | instid1(VALU_DEP_1)
	v_mad_co_u64_u32 v[24:25], null, 0xf534ddc0, v20, v[2:3]
	v_mov_b32_e32 v2, v25
	s_delay_alu instid0(VALU_DEP_1) | instskip(NEXT) | instid1(VALU_DEP_1)
	v_mad_co_u64_u32 v[25:26], null, 0xfc2757d1, v20, v[2:3]
	v_mov_b32_e32 v2, v26
	s_delay_alu instid0(VALU_DEP_1) | instskip(NEXT) | instid1(VALU_DEP_1)
	v_mad_co_u64_u32 v[26:27], null, 0x4e441529, v20, v[2:3]
	v_dual_mov_b32 v2, v27 :: v_dual_cndmask_b32 v29, v26, v24
	s_delay_alu instid0(VALU_DEP_1) | instskip(SKIP_2) | instid1(VALU_DEP_1)
	v_mad_co_u64_u32 v[27:28], null, 0xa2f9836e, v20, v[2:3]
	s_wait_alu 0xf1ff
	v_cndmask_b32_e64 v2, 0, 0xffffffe0, s4
	v_dual_cndmask_b32 v27, v27, v25 :: v_dual_add_nc_u32 v2, v2, v19
	s_delay_alu instid0(VALU_DEP_3) | instskip(SKIP_1) | instid1(VALU_DEP_3)
	v_dual_cndmask_b32 v26, v28, v26 :: v_dual_cndmask_b32 v25, v25, v23
	v_cndmask_b32_e32 v19, v24, v22, vcc_lo
	v_cmp_eq_u32_e32 vcc_lo, 0, v2
	s_delay_alu instid0(VALU_DEP_4) | instskip(NEXT) | instid1(VALU_DEP_4)
	v_cndmask_b32_e64 v22, v27, v29, s3
	v_cndmask_b32_e64 v24, v26, v27, s3
	v_cndmask_b32_e64 v26, v29, v25, s3
	v_sub_nc_u32_e32 v27, 32, v2
	v_cndmask_b32_e64 v25, v25, v19, s3
	v_cndmask_b32_e64 v18, v19, v18, s3
	;; [unrolled: 1-line block ×4, first 2 shown]
	s_delay_alu instid0(VALU_DEP_4) | instskip(NEXT) | instid1(VALU_DEP_4)
	v_cndmask_b32_e64 v26, v26, v25, s4
	v_cndmask_b32_e64 v18, v25, v18, s4
	s_delay_alu instid0(VALU_DEP_3) | instskip(NEXT) | instid1(VALU_DEP_3)
	v_alignbit_b32 v28, v24, v22, v27
	v_alignbit_b32 v23, v22, v26, v27
	s_delay_alu instid0(VALU_DEP_3) | instskip(SKIP_1) | instid1(VALU_DEP_2)
	v_alignbit_b32 v25, v26, v18, v27
	s_wait_alu 0xfffd
	v_dual_cndmask_b32 v2, v28, v24 :: v_dual_cndmask_b32 v19, v23, v22
	s_delay_alu instid0(VALU_DEP_2) | instskip(NEXT) | instid1(VALU_DEP_2)
	v_cndmask_b32_e32 v25, v25, v26, vcc_lo
	v_bfe_u32 v22, v2, 29, 1
	s_delay_alu instid0(VALU_DEP_3) | instskip(NEXT) | instid1(VALU_DEP_3)
	v_alignbit_b32 v23, v2, v19, 30
	v_alignbit_b32 v19, v19, v25, 30
	;; [unrolled: 1-line block ×3, first 2 shown]
	s_delay_alu instid0(VALU_DEP_4) | instskip(NEXT) | instid1(VALU_DEP_1)
	v_sub_nc_u32_e32 v24, 0, v22
	v_xor_b32_e32 v23, v23, v24
	s_delay_alu instid0(VALU_DEP_4) | instskip(NEXT) | instid1(VALU_DEP_4)
	v_xor_b32_e32 v19, v19, v24
	v_xor_b32_e32 v18, v18, v24
	s_delay_alu instid0(VALU_DEP_3) | instskip(NEXT) | instid1(VALU_DEP_1)
	v_clz_i32_u32_e32 v26, v23
	v_min_u32_e32 v26, 32, v26
	s_delay_alu instid0(VALU_DEP_1) | instskip(SKIP_3) | instid1(VALU_DEP_4)
	v_sub_nc_u32_e32 v25, 31, v26
	v_lshlrev_b32_e32 v27, 23, v26
	v_lshrrev_b32_e32 v24, 29, v2
	v_lshrrev_b32_e32 v2, 30, v2
	v_alignbit_b32 v23, v23, v19, v25
	v_alignbit_b32 v18, v19, v18, v25
	s_delay_alu instid0(VALU_DEP_4) | instskip(NEXT) | instid1(VALU_DEP_2)
	v_lshlrev_b32_e32 v19, 31, v24
	v_alignbit_b32 v24, v23, v18, 9
	s_delay_alu instid0(VALU_DEP_2) | instskip(SKIP_2) | instid1(VALU_DEP_4)
	v_or_b32_e32 v25, 0.5, v19
	v_lshrrev_b32_e32 v23, 9, v23
	v_or_b32_e32 v19, 0x33000000, v19
	v_clz_i32_u32_e32 v28, v24
	s_delay_alu instid0(VALU_DEP_4) | instskip(NEXT) | instid1(VALU_DEP_2)
	v_sub_nc_u32_e32 v25, v25, v27
	v_min_u32_e32 v27, 32, v28
	s_delay_alu instid0(VALU_DEP_2) | instskip(NEXT) | instid1(VALU_DEP_2)
	v_or_b32_e32 v23, v23, v25
	v_not_b32_e32 v25, v27
	v_add_lshl_u32 v26, v27, v26, 23
	s_delay_alu instid0(VALU_DEP_3) | instskip(NEXT) | instid1(VALU_DEP_3)
	v_mul_f32_e32 v28, 0x3fc90fda, v23
	v_alignbit_b32 v18, v24, v18, v25
	s_delay_alu instid0(VALU_DEP_3) | instskip(NEXT) | instid1(VALU_DEP_2)
	v_sub_nc_u32_e32 v19, v19, v26
	v_lshrrev_b32_e32 v18, 9, v18
	s_delay_alu instid0(VALU_DEP_1) | instskip(SKIP_2) | instid1(VALU_DEP_1)
	v_or_b32_e32 v18, v19, v18
	v_add_nc_u32_e32 v19, v22, v2
	v_fma_f32 v24, 0x3fc90fda, v23, -v28
	v_fmac_f32_e32 v24, 0x33a22168, v23
	s_delay_alu instid0(VALU_DEP_1) | instskip(NEXT) | instid1(VALU_DEP_1)
	v_fmac_f32_e32 v24, 0x3fc90fda, v18
	v_add_f32_e32 v18, v28, v24
.LBB4_20:                               ;   in Loop: Header=BB4_2 Depth=1
	s_or_saveexec_b32 s3, s29
	v_mul_f32_e64 v2, 0x3f22f983, |v15|
	s_delay_alu instid0(VALU_DEP_1)
	v_rndne_f32_e32 v23, v2
	s_wait_alu 0xfffe
	s_xor_b32 exec_lo, exec_lo, s3
; %bb.21:                               ;   in Loop: Header=BB4_2 Depth=1
	s_delay_alu instid0(VALU_DEP_1) | instskip(SKIP_1) | instid1(VALU_DEP_2)
	v_fma_f32 v18, 0xbfc90fda, v23, |v15|
	v_cvt_i32_f32_e32 v19, v23
	v_fmac_f32_e32 v18, 0xb3a22168, v23
	s_delay_alu instid0(VALU_DEP_1)
	v_fmac_f32_e32 v18, 0xa7c234c4, v23
; %bb.22:                               ;   in Loop: Header=BB4_2 Depth=1
	s_or_b32 exec_lo, exec_lo, s3
                                        ; implicit-def: $vgpr22
                                        ; implicit-def: $vgpr2
	s_and_saveexec_b32 s3, s28
	s_wait_alu 0xfffe
	s_xor_b32 s28, exec_lo, s3
	s_cbranch_execz .LBB4_24
; %bb.23:                               ;   in Loop: Header=BB4_2 Depth=1
	v_mad_co_u64_u32 v[22:23], null, 0xfe5163ab, v20, 0
	v_cmp_lt_u32_e32 vcc_lo, 63, v21
	s_wait_alu 0xfffd
	v_cndmask_b32_e64 v28, 0, 0xffffffc0, vcc_lo
	s_delay_alu instid0(VALU_DEP_1) | instskip(NEXT) | instid1(VALU_DEP_1)
	v_dual_mov_b32 v2, v23 :: v_dual_add_nc_u32 v21, v28, v21
	v_mad_co_u64_u32 v[23:24], null, 0x3c439041, v20, v[2:3]
	s_delay_alu instid0(VALU_DEP_2) | instskip(NEXT) | instid1(VALU_DEP_2)
	v_cmp_lt_u32_e64 s3, 31, v21
	v_mov_b32_e32 v2, v24
	s_wait_alu 0xf1ff
	s_delay_alu instid0(VALU_DEP_2) | instskip(NEXT) | instid1(VALU_DEP_2)
	v_cndmask_b32_e64 v29, 0, 0xffffffe0, s3
	v_mad_co_u64_u32 v[24:25], null, 0xdb629599, v20, v[2:3]
	s_delay_alu instid0(VALU_DEP_1) | instskip(NEXT) | instid1(VALU_DEP_2)
	v_mov_b32_e32 v2, v25
	v_cndmask_b32_e32 v22, v24, v22, vcc_lo
	s_delay_alu instid0(VALU_DEP_2) | instskip(NEXT) | instid1(VALU_DEP_1)
	v_mad_co_u64_u32 v[25:26], null, 0xf534ddc0, v20, v[2:3]
	v_dual_mov_b32 v2, v26 :: v_dual_cndmask_b32 v23, v25, v23
	s_delay_alu instid0(VALU_DEP_1) | instskip(NEXT) | instid1(VALU_DEP_1)
	v_mad_co_u64_u32 v[26:27], null, 0xfc2757d1, v20, v[2:3]
	v_mov_b32_e32 v2, v27
	s_delay_alu instid0(VALU_DEP_1) | instskip(NEXT) | instid1(VALU_DEP_1)
	v_mad_co_u64_u32 v[27:28], null, 0x4e441529, v20, v[2:3]
	v_mov_b32_e32 v2, v28
	v_add_nc_u32_e32 v28, v29, v21
	s_delay_alu instid0(VALU_DEP_3) | instskip(NEXT) | instid1(VALU_DEP_3)
	v_cndmask_b32_e32 v29, v27, v25, vcc_lo
	v_mad_co_u64_u32 v[20:21], null, 0xa2f9836e, v20, v[2:3]
	s_delay_alu instid0(VALU_DEP_3) | instskip(SKIP_1) | instid1(VALU_DEP_1)
	v_cmp_lt_u32_e64 s4, 31, v28
	s_wait_alu 0xf1ff
	v_cndmask_b32_e64 v2, 0, 0xffffffe0, s4
	s_delay_alu instid0(VALU_DEP_3) | instskip(SKIP_1) | instid1(VALU_DEP_3)
	v_dual_cndmask_b32 v20, v20, v26 :: v_dual_cndmask_b32 v21, v21, v27
	v_cndmask_b32_e32 v26, v26, v24, vcc_lo
	v_add_nc_u32_e32 v2, v2, v28
	s_delay_alu instid0(VALU_DEP_3) | instskip(NEXT) | instid1(VALU_DEP_4)
	v_cndmask_b32_e64 v25, v20, v29, s3
	v_cndmask_b32_e64 v20, v21, v20, s3
	s_delay_alu instid0(VALU_DEP_4)
	v_cndmask_b32_e64 v21, v29, v26, s3
	v_cndmask_b32_e64 v26, v26, v23, s3
	v_sub_nc_u32_e32 v27, 32, v2
	v_cmp_eq_u32_e32 vcc_lo, 0, v2
	v_cndmask_b32_e64 v20, v20, v25, s4
	v_cndmask_b32_e64 v25, v25, v21, s4
	;; [unrolled: 1-line block ×3, first 2 shown]
	s_delay_alu instid0(VALU_DEP_2) | instskip(NEXT) | instid1(VALU_DEP_2)
	v_alignbit_b32 v28, v20, v25, v27
	v_alignbit_b32 v24, v25, v21, v27
	s_wait_alu 0xfffd
	s_delay_alu instid0(VALU_DEP_2) | instskip(SKIP_1) | instid1(VALU_DEP_3)
	v_cndmask_b32_e32 v2, v28, v20, vcc_lo
	v_cndmask_b32_e64 v20, v23, v22, s3
	v_cndmask_b32_e32 v22, v24, v25, vcc_lo
	s_delay_alu instid0(VALU_DEP_3) | instskip(NEXT) | instid1(VALU_DEP_3)
	v_bfe_u32 v23, v2, 29, 1
	v_cndmask_b32_e64 v20, v26, v20, s4
	s_delay_alu instid0(VALU_DEP_3) | instskip(NEXT) | instid1(VALU_DEP_3)
	v_alignbit_b32 v24, v2, v22, 30
	v_sub_nc_u32_e32 v25, 0, v23
	s_delay_alu instid0(VALU_DEP_3) | instskip(NEXT) | instid1(VALU_DEP_2)
	v_alignbit_b32 v26, v21, v20, v27
	v_xor_b32_e32 v24, v24, v25
	s_delay_alu instid0(VALU_DEP_2) | instskip(NEXT) | instid1(VALU_DEP_2)
	v_cndmask_b32_e32 v21, v26, v21, vcc_lo
	v_clz_i32_u32_e32 v26, v24
	s_delay_alu instid0(VALU_DEP_2) | instskip(SKIP_1) | instid1(VALU_DEP_3)
	v_alignbit_b32 v22, v22, v21, 30
	v_alignbit_b32 v20, v21, v20, 30
	v_min_u32_e32 v26, 32, v26
	s_delay_alu instid0(VALU_DEP_3) | instskip(NEXT) | instid1(VALU_DEP_3)
	v_xor_b32_e32 v21, v22, v25
	v_xor_b32_e32 v20, v20, v25
	s_delay_alu instid0(VALU_DEP_3) | instskip(SKIP_2) | instid1(VALU_DEP_3)
	v_sub_nc_u32_e32 v22, 31, v26
	v_lshlrev_b32_e32 v27, 23, v26
	v_lshrrev_b32_e32 v25, 29, v2
	v_alignbit_b32 v24, v24, v21, v22
	v_alignbit_b32 v20, v21, v20, v22
	s_delay_alu instid0(VALU_DEP_3) | instskip(NEXT) | instid1(VALU_DEP_2)
	v_lshlrev_b32_e32 v21, 31, v25
	v_alignbit_b32 v22, v24, v20, 9
	s_delay_alu instid0(VALU_DEP_2) | instskip(SKIP_2) | instid1(VALU_DEP_4)
	v_or_b32_e32 v25, 0.5, v21
	v_lshrrev_b32_e32 v24, 9, v24
	v_or_b32_e32 v21, 0x33000000, v21
	v_clz_i32_u32_e32 v28, v22
	s_delay_alu instid0(VALU_DEP_4) | instskip(NEXT) | instid1(VALU_DEP_2)
	v_sub_nc_u32_e32 v25, v25, v27
	v_min_u32_e32 v27, 32, v28
	s_delay_alu instid0(VALU_DEP_2) | instskip(NEXT) | instid1(VALU_DEP_2)
	v_or_b32_e32 v24, v24, v25
	v_not_b32_e32 v25, v27
	s_delay_alu instid0(VALU_DEP_2) | instskip(SKIP_1) | instid1(VALU_DEP_3)
	v_mul_f32_e32 v28, 0x3fc90fda, v24
	v_add_lshl_u32 v26, v27, v26, 23
	v_alignbit_b32 v20, v22, v20, v25
	s_delay_alu instid0(VALU_DEP_3) | instskip(NEXT) | instid1(VALU_DEP_3)
	v_fma_f32 v22, 0x3fc90fda, v24, -v28
	v_sub_nc_u32_e32 v21, v21, v26
	s_delay_alu instid0(VALU_DEP_3) | instskip(NEXT) | instid1(VALU_DEP_3)
	v_lshrrev_b32_e32 v20, 9, v20
	v_fmac_f32_e32 v22, 0x33a22168, v24
	s_delay_alu instid0(VALU_DEP_2) | instskip(NEXT) | instid1(VALU_DEP_1)
	v_or_b32_e32 v20, v21, v20
	v_fmac_f32_e32 v22, 0x3fc90fda, v20
	v_lshrrev_b32_e32 v20, 30, v2
	s_delay_alu instid0(VALU_DEP_2) | instskip(NEXT) | instid1(VALU_DEP_2)
	v_add_f32_e32 v2, v28, v22
	v_add_nc_u32_e32 v22, v23, v20
                                        ; implicit-def: $vgpr23
	s_and_not1_saveexec_b32 s3, s28
	s_cbranch_execz .LBB4_1
	s_branch .LBB4_25
.LBB4_24:                               ;   in Loop: Header=BB4_2 Depth=1
	s_and_not1_saveexec_b32 s3, s28
	s_cbranch_execz .LBB4_1
.LBB4_25:                               ;   in Loop: Header=BB4_2 Depth=1
	v_fma_f32 v2, 0xbfc90fda, v23, |v15|
	v_cvt_i32_f32_e32 v22, v23
	s_delay_alu instid0(VALU_DEP_2) | instskip(NEXT) | instid1(VALU_DEP_1)
	v_fmac_f32_e32 v2, 0xb3a22168, v23
	v_fmac_f32_e32 v2, 0xa7c234c4, v23
	s_branch .LBB4_1
.LBB4_26:
	s_clause 0x1
	s_load_b64 s[12:13], s[0:1], 0x0
	s_load_b128 s[4:7], s[0:1], 0x48
	scratch_load_b128 v[0:3], off, off offset:64
	v_mov_b32_e32 v32, 0
	s_add_nc_u64 s[8:9], s[8:9], 8
	s_wait_kmcnt 0x0
	s_max_i32 s1, s13, 1
	s_mov_b32 s13, 0
	s_max_i32 s3, s12, 1
	s_wait_alu 0xfffe
	s_mov_b32 s12, s13
	s_wait_loadcnt 0x0
	scratch_store_b128 off, v[0:3], off offset:832 ; 16-byte Folded Spill
	scratch_load_b128 v[0:3], off, off offset:80
	s_wait_loadcnt 0x0
	scratch_store_b128 off, v[0:3], off offset:848 ; 16-byte Folded Spill
	scratch_load_b128 v[0:3], off, off offset:96
	;; [unrolled: 3-line block ×19, first 2 shown]
	s_wait_loadcnt 0x0
	scratch_store_b128 off, v[0:3], off offset:1136 ; 16-byte Folded Spill
	s_clause 0x1f
	scratch_load_b128 v[88:91], off, off offset:384
	scratch_load_b128 v[96:99], off, off offset:400
	scratch_load_b128 v[104:107], off, off offset:416
	scratch_load_b128 v[108:111], off, off offset:432
	scratch_load_b128 v[100:103], off, off
	scratch_load_b128 v[92:95], off, off offset:16
	scratch_load_b128 v[4:7], off, off offset:32
	;; [unrolled: 1-line block ×27, first 2 shown]
.LBB4_27:                               ; =>This Loop Header: Depth=1
                                        ;     Child Loop BB4_28 Depth 2
	s_wait_alu 0xfffe
	s_lshl_b64 s[14:15], s[12:13], 4
	scratch_load_b128 v[33:36], off, off offset:832 ; 16-byte Folded Reload
	s_wait_alu 0xfffe
	s_add_nc_u64 s[14:15], s[10:11], s[14:15]
	s_mov_b32 s25, s1
	global_load_b128 v[28:31], v32, s[14:15]
	s_mov_b64 s[14:15], s[8:9]
	s_wait_loadcnt 0x0
	v_ashrrev_i32_e32 v25, 31, v31
	v_mov_b32_e32 v24, v31
	v_fma_f32 v55, v28, v112, v115
	v_fma_f32 v54, v28, v108, v111
	;; [unrolled: 1-line block ×4, first 2 shown]
	v_lshlrev_b64_e32 v[24:25], 4, v[24:25]
	v_fma_f32 v59, v28, v128, v131
	v_fma_f32 v58, v28, v124, v127
	;; [unrolled: 1-line block ×5, first 2 shown]
	v_add_co_u32 v24, vcc_lo, s6, v24
	s_wait_alu 0xfffd
	v_add_co_ci_u32_e64 v25, null, s7, v25, vcc_lo
	v_fma_f32 v62, v28, v140, v143
	v_fma_f32 v65, v28, v152, v155
	;; [unrolled: 1-line block ×3, first 2 shown]
	global_load_b128 v[24:27], v[24:25], off
	v_fma_f32 v67, v28, v160, v163
	v_fma_f32 v66, v28, v156, v159
	v_fma_f32 v69, v28, v168, v171
	v_fma_f32 v68, v28, v164, v167
	v_fma_f32 v71, v28, v176, v179
	v_fma_f32 v70, v28, v172, v175
	v_fma_f32 v73, v28, v184, v187
	v_fma_f32 v72, v28, v180, v183
	v_fma_f32 v75, v28, v8, v11
	v_fma_f32 v74, v28, v188, v191
	v_fma_f32 v76, v28, v12, v15
	v_fma_f32 v77, v28, v16, v19
	v_fma_f32 v78, v28, v20, v23
	v_fmac_f32_e32 v55, v29, v113
	v_fmac_f32_e32 v57, v29, v121
	;; [unrolled: 1-line block ×4, first 2 shown]
	s_delay_alu instid0(VALU_DEP_4) | instskip(NEXT) | instid1(VALU_DEP_4)
	v_dual_fmac_f32 v78, v29, v21 :: v_dual_fmac_f32 v55, v30, v114
	v_fmac_f32_e32 v57, v30, v122
	s_delay_alu instid0(VALU_DEP_4) | instskip(SKIP_3) | instid1(VALU_DEP_4)
	v_dual_fmac_f32 v54, v30, v110 :: v_dual_fmac_f32 v59, v29, v129
	v_fmac_f32_e32 v56, v29, v117
	v_fmac_f32_e32 v76, v30, v14
	v_dual_fmac_f32 v78, v30, v22 :: v_dual_fmac_f32 v61, v29, v137
	v_dual_fmac_f32 v58, v29, v125 :: v_dual_fmac_f32 v59, v30, v130
	s_delay_alu instid0(VALU_DEP_4) | instskip(NEXT) | instid1(VALU_DEP_3)
	v_dual_fmac_f32 v56, v30, v118 :: v_dual_fmac_f32 v63, v29, v145
	v_dual_fmac_f32 v60, v29, v133 :: v_dual_fmac_f32 v61, v30, v138
	s_delay_alu instid0(VALU_DEP_3) | instskip(NEXT) | instid1(VALU_DEP_3)
	v_dual_fmac_f32 v58, v30, v126 :: v_dual_fmac_f32 v65, v29, v153
	v_dual_fmac_f32 v62, v29, v141 :: v_dual_fmac_f32 v63, v30, v146
	s_delay_alu instid0(VALU_DEP_3) | instskip(NEXT) | instid1(VALU_DEP_3)
	;; [unrolled: 3-line block ×8, first 2 shown]
	v_fmac_f32_e32 v72, v30, v182
	v_fmac_f32_e32 v77, v30, v18
	s_delay_alu instid0(VALU_DEP_3) | instskip(SKIP_4) | instid1(VALU_DEP_2)
	v_fmac_f32_e32 v74, v30, v190
	s_wait_loadcnt 0x0
	v_readfirstlane_b32 s0, v24
	v_fma_f32 v24, v28, v33, v36
	v_readfirstlane_b32 s16, v26
	v_fmac_f32_e32 v24, v29, v34
	s_cmp_gt_f32 s16, 0
	s_delay_alu instid0(VALU_DEP_1)
	v_fmac_f32_e32 v24, v30, v35
	scratch_load_b128 v[33:36], off, off offset:848 ; 16-byte Folded Reload
	s_cselect_b32 s17, -1, 0
	s_cmp_eq_u32 s0, 0x46
	s_cselect_b32 s18, -1, 0
	s_cmp_eq_u32 s0, 0x45
	s_cselect_b32 s19, -1, 0
	s_cmp_lt_f32 s16, 0
	s_cselect_b32 s20, -1, 0
	s_wait_alu 0xfffe
	s_and_b32 s0, s20, exec_lo
	s_cselect_b32 s21, 0x40b00000, 1.0
	s_cselect_b32 s22, 1.0, 0xff7fffff
	s_xor_b32 s23, s16, 0x80000000
	s_wait_loadcnt 0x0
	v_fma_f32 v26, v28, v33, v36
	s_delay_alu instid0(VALU_DEP_1) | instskip(NEXT) | instid1(VALU_DEP_1)
	v_fmac_f32_e32 v26, v29, v34
	v_fmac_f32_e32 v26, v30, v35
	scratch_load_b128 v[33:36], off, off offset:864 ; 16-byte Folded Reload
	s_wait_loadcnt 0x0
	v_fma_f32 v33, v28, v33, v36
	s_delay_alu instid0(VALU_DEP_1) | instskip(NEXT) | instid1(VALU_DEP_1)
	v_fmac_f32_e32 v33, v29, v34
	v_fmac_f32_e32 v33, v30, v35
	scratch_load_b128 v[34:37], off, off offset:880 ; 16-byte Folded Reload
	;; [unrolled: 6-line block ×18, first 2 shown]
	s_wait_loadcnt 0x0
	v_fma_f32 v50, v28, v50, v53
	v_fma_f32 v53, v28, v104, v107
	s_delay_alu instid0(VALU_DEP_1) | instskip(NEXT) | instid1(VALU_DEP_3)
	v_fmac_f32_e32 v53, v29, v105
	v_fmac_f32_e32 v50, v29, v51
	v_fma_f32 v51, v28, v88, v91
	s_delay_alu instid0(VALU_DEP_3) | instskip(NEXT) | instid1(VALU_DEP_3)
	v_fmac_f32_e32 v53, v30, v106
	v_fmac_f32_e32 v50, v30, v52
	v_fma_f32 v52, v28, v96, v99
	s_delay_alu instid0(VALU_DEP_4) | instskip(NEXT) | instid1(VALU_DEP_1)
	v_fmac_f32_e32 v51, v29, v89
	v_dual_fmac_f32 v52, v29, v97 :: v_dual_fmac_f32 v51, v30, v90
	s_delay_alu instid0(VALU_DEP_1)
	v_fmac_f32_e32 v52, v30, v98
.LBB4_28:                               ;   Parent Loop BB4_27 Depth=1
                                        ; =>  This Inner Loop Header: Depth=2
	global_load_b128 v[28:31], v32, s[14:15] offset:-8
	s_add_nc_u64 s[14:15], s[14:15], 16
	s_wait_loadcnt 0x0
	v_ashrrev_i32_e32 v80, 31, v31
	v_mov_b32_e32 v79, v31
	s_delay_alu instid0(VALU_DEP_1) | instskip(NEXT) | instid1(VALU_DEP_1)
	v_lshlrev_b64_e32 v[79:80], 4, v[79:80]
	v_add_co_u32 v79, vcc_lo, s6, v79
	s_wait_alu 0xfffd
	s_delay_alu instid0(VALU_DEP_2)
	v_add_co_ci_u32_e64 v80, null, s7, v80, vcc_lo
	global_load_b128 v[79:82], v[79:80], off
	s_wait_loadcnt 0x0
	v_readfirstlane_b32 s28, v81
	v_add_f32_e32 v81, v25, v80
	v_readfirstlane_b32 s0, v79
	s_delay_alu instid0(VALU_DEP_2) | instskip(SKIP_1) | instid1(VALU_DEP_2)
	v_div_scale_f32 v31, null, v81, v81, 1.0
	s_wait_alu 0xfffe
	s_cmp_eq_u32 s0, 0x46
	s_cselect_b32 s26, -1, 0
	s_delay_alu instid0(VALU_DEP_1)
	v_xor_b32_e32 v79, 0x80000000, v31
	v_rcp_f32_e32 v31, v31
	s_wait_alu 0xfffe
	s_and_b32 s26, s26, s18
	s_wait_alu 0xfffe
	s_and_b32 s26, s26, exec_lo
	s_cselect_b32 s30, 4.0, 2.0
	s_cselect_b32 s31, 0x3e800000, 0.5
	s_cmp_eq_u32 s0, 0x45
	s_cselect_b32 s0, -1, 0
	s_delay_alu instid0(TRANS32_DEP_1) | instskip(SKIP_3) | instid1(VALU_DEP_1)
	v_fma_f32 v80, v79, v31, 1.0
	s_wait_alu 0xfffe
	s_or_b32 s29, s0, s19
	s_cmp_gt_f32 s28, 0
	v_fmac_f32_e32 v31, v80, v31
	v_div_scale_f32 v80, vcc_lo, 1.0, v81, 1.0
	s_cselect_b32 s0, -1, 0
	s_cmp_neq_f32 s28, 0
	v_mul_f32_e32 v83, v80, v31
	s_cselect_b32 s26, -1, 0
	s_cmp_lt_f32 s28, 0
	s_delay_alu instid0(VALU_DEP_1) | instskip(SKIP_1) | instid1(SALU_CYCLE_1)
	v_fma_f32 v84, v79, v83, v80
	s_cselect_b32 s33, -1, 0
	s_and_b32 s27, s33, exec_lo
	s_delay_alu instid0(VALU_DEP_1)
	v_fmac_f32_e32 v83, v84, v31
	s_cselect_b32 s27, s21, s22
	s_and_b32 s33, s33, s17
	s_xor_b32 s34, s28, 0x80000000
	s_and_b32 s33, s33, exec_lo
	v_fmac_f32_e32 v80, v79, v83
	s_cselect_b32 s28, s34, s28
	s_wait_alu 0xfffe
	s_and_b32 s0, s0, s20
	s_wait_alu 0xfffe
	s_and_b32 s0, s0, exec_lo
	s_wait_alu 0xfffd
	v_div_fmas_f32 v31, v80, v31, v83
	s_cselect_b32 s0, s23, s16
	s_add_co_i32 s25, s25, -1
	s_wait_alu 0xfffe
	s_add_f32 s28, s28, s0
	v_div_fixup_f32 v80, v31, v81, 1.0
	v_div_scale_f32 v31, null, s27, s27, 1.0
	s_delay_alu instid0(VALU_DEP_1) | instskip(SKIP_1) | instid1(TRANS32_DEP_1)
	v_xor_b32_e32 v79, 0x80000000, v31
	v_rcp_f32_e32 v31, v31
	v_fma_f32 v83, v79, v31, 1.0
	s_delay_alu instid0(VALU_DEP_1) | instskip(SKIP_1) | instid1(VALU_DEP_1)
	v_fmac_f32_e32 v31, v83, v31
	v_div_scale_f32 v83, vcc_lo, 1.0, s27, 1.0
	v_mul_f32_e32 v84, v83, v31
	s_delay_alu instid0(VALU_DEP_1) | instskip(NEXT) | instid1(VALU_DEP_1)
	v_fma_f32 v85, v79, v84, v83
	v_fmac_f32_e32 v84, v85, v31
	s_delay_alu instid0(VALU_DEP_1) | instskip(SKIP_2) | instid1(VALU_DEP_2)
	v_fmac_f32_e32 v83, v79, v84
	v_dual_mul_f32 v79, v27, v82 :: v_dual_sub_f32 v82, v24, v28
	s_wait_alu 0xfffd
	v_div_fmas_f32 v31, v83, v31, v84
	v_dual_sub_f32 v83, v26, v29 :: v_dual_sub_f32 v84, v33, v30
	s_delay_alu instid0(VALU_DEP_2) | instskip(NEXT) | instid1(VALU_DEP_2)
	v_div_fixup_f32 v31, v31, s27, 1.0
	v_mul_f32_e32 v83, v83, v83
	s_delay_alu instid0(VALU_DEP_1) | instskip(NEXT) | instid1(VALU_DEP_1)
	v_fmac_f32_e32 v83, v82, v82
	v_fmac_f32_e32 v83, v84, v84
	s_delay_alu instid0(VALU_DEP_1) | instskip(SKIP_2) | instid1(VALU_DEP_1)
	v_cmp_gt_f32_e32 vcc_lo, 0xf800000, v83
	v_mul_f32_e32 v82, 0x4f800000, v83
	s_wait_alu 0xfffd
	v_cndmask_b32_e32 v82, v83, v82, vcc_lo
	s_delay_alu instid0(VALU_DEP_1) | instskip(NEXT) | instid1(TRANS32_DEP_1)
	v_sqrt_f32_e32 v83, v82
	v_add_nc_u32_e32 v84, -1, v83
	s_delay_alu instid0(VALU_DEP_1) | instskip(NEXT) | instid1(VALU_DEP_1)
	v_fma_f32 v85, -v84, v83, v82
	v_cmp_ge_f32_e64 s0, 0, v85
	v_add_nc_u32_e32 v85, 1, v83
	s_wait_alu 0xf1ff
	s_delay_alu instid0(VALU_DEP_2) | instskip(NEXT) | instid1(VALU_DEP_2)
	v_cndmask_b32_e64 v84, v83, v84, s0
	v_fma_f32 v83, -v85, v83, v82
	s_delay_alu instid0(VALU_DEP_1) | instskip(SKIP_1) | instid1(VALU_DEP_1)
	v_cmp_lt_f32_e64 s0, 0, v83
	s_wait_alu 0xf1ff
	v_cndmask_b32_e64 v83, v84, v85, s0
	s_delay_alu instid0(VALU_DEP_1) | instskip(NEXT) | instid1(VALU_DEP_1)
	v_mul_f32_e32 v84, 0x37800000, v83
	v_cndmask_b32_e32 v83, v83, v84, vcc_lo
	v_cmp_class_f32_e64 vcc_lo, v82, 0x260
	s_wait_alu 0xfffd
	s_delay_alu instid0(VALU_DEP_2) | instskip(NEXT) | instid1(VALU_DEP_1)
	v_cndmask_b32_e32 v82, v83, v82, vcc_lo
	v_sub_f32_e32 v83, v82, v81
	v_fma_f32 v82, -v80, v82, 1.0
	s_delay_alu instid0(VALU_DEP_2) | instskip(SKIP_3) | instid1(VALU_DEP_1)
	v_cmp_gt_f32_e32 vcc_lo, 0, v83
	v_cmp_gt_f32_e64 s0, s30, v83
	s_wait_alu 0xfffd
	v_cndmask_b32_e64 v84, 0, 0x42980000, vcc_lo
	v_fmac_f32_e32 v100, v82, v84
	v_fma_f32 v82, -s31, v83, 1.0
	s_wait_alu 0xf1ff
	v_cndmask_b32_e64 v84, 0, 1.0, s0
	v_cmp_gt_f32_e64 s0, s27, v83
	s_delay_alu instid0(VALU_DEP_3) | instskip(SKIP_1) | instid1(VALU_DEP_1)
	v_cndmask_b32_e64 v82, v82, 1.0, vcc_lo
	s_and_b32 s0, s26, s0
	v_mul_f32_e32 v82, v84, v82
	v_sub_f32_e32 v84, v36, v30
	s_delay_alu instid0(VALU_DEP_2) | instskip(NEXT) | instid1(VALU_DEP_1)
	v_mul_f32_e32 v82, v79, v82
	v_cndmask_b32_e64 v82, v82, -|v82|, s29
	s_delay_alu instid0(VALU_DEP_1) | instskip(SKIP_3) | instid1(VALU_DEP_2)
	v_fmac_f32_e32 v100, 0x42340000, v82
	v_fma_f32 v82, -v31, v83, 1.0
	s_wait_alu 0xfffe
	v_cndmask_b32_e64 v83, 0, 1.0, s0
	v_cndmask_b32_e64 v82, v82, 1.0, vcc_lo
	s_delay_alu instid0(VALU_DEP_2) | instskip(NEXT) | instid1(VALU_DEP_1)
	v_mul_f32_e32 v83, s28, v83
	v_dual_fmac_f32 v100, v82, v83 :: v_dual_sub_f32 v83, v35, v29
	s_delay_alu instid0(VALU_DEP_1) | instskip(NEXT) | instid1(VALU_DEP_1)
	v_dual_sub_f32 v82, v34, v28 :: v_dual_mul_f32 v83, v83, v83
	v_fmac_f32_e32 v83, v82, v82
	s_delay_alu instid0(VALU_DEP_1) | instskip(NEXT) | instid1(VALU_DEP_1)
	v_fmac_f32_e32 v83, v84, v84
	v_cmp_gt_f32_e32 vcc_lo, 0xf800000, v83
	v_mul_f32_e32 v82, 0x4f800000, v83
	s_wait_alu 0xfffd
	s_delay_alu instid0(VALU_DEP_1) | instskip(NEXT) | instid1(VALU_DEP_1)
	v_cndmask_b32_e32 v82, v83, v82, vcc_lo
	v_sqrt_f32_e32 v83, v82
	s_delay_alu instid0(TRANS32_DEP_1) | instskip(NEXT) | instid1(VALU_DEP_1)
	v_add_nc_u32_e32 v84, -1, v83
	v_fma_f32 v85, -v84, v83, v82
	s_delay_alu instid0(VALU_DEP_1) | instskip(SKIP_2) | instid1(VALU_DEP_2)
	v_cmp_ge_f32_e64 s0, 0, v85
	v_add_nc_u32_e32 v85, 1, v83
	s_wait_alu 0xf1ff
	v_cndmask_b32_e64 v84, v83, v84, s0
	s_delay_alu instid0(VALU_DEP_2) | instskip(NEXT) | instid1(VALU_DEP_1)
	v_fma_f32 v83, -v85, v83, v82
	v_cmp_lt_f32_e64 s0, 0, v83
	s_wait_alu 0xf1ff
	s_delay_alu instid0(VALU_DEP_1) | instskip(NEXT) | instid1(VALU_DEP_1)
	v_cndmask_b32_e64 v83, v84, v85, s0
	v_mul_f32_e32 v84, 0x37800000, v83
	s_delay_alu instid0(VALU_DEP_1) | instskip(SKIP_2) | instid1(VALU_DEP_2)
	v_cndmask_b32_e32 v83, v83, v84, vcc_lo
	v_cmp_class_f32_e64 vcc_lo, v82, 0x260
	s_wait_alu 0xfffd
	v_cndmask_b32_e32 v82, v83, v82, vcc_lo
	s_delay_alu instid0(VALU_DEP_1) | instskip(SKIP_1) | instid1(VALU_DEP_2)
	v_sub_f32_e32 v83, v82, v81
	v_fma_f32 v82, -v80, v82, 1.0
	v_cmp_gt_f32_e32 vcc_lo, 0, v83
	v_cmp_gt_f32_e64 s0, s30, v83
	s_wait_alu 0xfffd
	v_cndmask_b32_e64 v84, 0, 0x42980000, vcc_lo
	s_delay_alu instid0(VALU_DEP_1) | instskip(SKIP_4) | instid1(VALU_DEP_3)
	v_fmac_f32_e32 v101, v82, v84
	v_fma_f32 v82, -s31, v83, 1.0
	s_wait_alu 0xf1ff
	v_cndmask_b32_e64 v84, 0, 1.0, s0
	v_cmp_gt_f32_e64 s0, s27, v83
	v_cndmask_b32_e64 v82, v82, 1.0, vcc_lo
	s_and_b32 s0, s26, s0
	s_delay_alu instid0(VALU_DEP_1) | instskip(SKIP_1) | instid1(VALU_DEP_2)
	v_mul_f32_e32 v82, v84, v82
	v_sub_f32_e32 v84, v39, v30
	v_mul_f32_e32 v82, v79, v82
	s_delay_alu instid0(VALU_DEP_1) | instskip(NEXT) | instid1(VALU_DEP_1)
	v_cndmask_b32_e64 v82, v82, -|v82|, s29
	v_fmac_f32_e32 v101, 0x42340000, v82
	v_fma_f32 v82, -v31, v83, 1.0
	s_wait_alu 0xfffe
	v_cndmask_b32_e64 v83, 0, 1.0, s0
	s_delay_alu instid0(VALU_DEP_2) | instskip(NEXT) | instid1(VALU_DEP_2)
	v_cndmask_b32_e64 v82, v82, 1.0, vcc_lo
	v_mul_f32_e32 v83, s28, v83
	s_delay_alu instid0(VALU_DEP_1) | instskip(SKIP_1) | instid1(VALU_DEP_1)
	v_fmac_f32_e32 v101, v82, v83
	v_dual_sub_f32 v83, v38, v29 :: v_dual_sub_f32 v82, v37, v28
	v_mul_f32_e32 v83, v83, v83
	s_delay_alu instid0(VALU_DEP_1) | instskip(NEXT) | instid1(VALU_DEP_1)
	v_fmac_f32_e32 v83, v82, v82
	v_fmac_f32_e32 v83, v84, v84
	s_delay_alu instid0(VALU_DEP_1) | instskip(SKIP_2) | instid1(VALU_DEP_1)
	v_cmp_gt_f32_e32 vcc_lo, 0xf800000, v83
	v_mul_f32_e32 v82, 0x4f800000, v83
	s_wait_alu 0xfffd
	v_cndmask_b32_e32 v82, v83, v82, vcc_lo
	s_delay_alu instid0(VALU_DEP_1) | instskip(NEXT) | instid1(TRANS32_DEP_1)
	v_sqrt_f32_e32 v83, v82
	v_add_nc_u32_e32 v84, -1, v83
	s_delay_alu instid0(VALU_DEP_1) | instskip(NEXT) | instid1(VALU_DEP_1)
	v_fma_f32 v85, -v84, v83, v82
	v_cmp_ge_f32_e64 s0, 0, v85
	v_add_nc_u32_e32 v85, 1, v83
	s_wait_alu 0xf1ff
	s_delay_alu instid0(VALU_DEP_2) | instskip(NEXT) | instid1(VALU_DEP_2)
	v_cndmask_b32_e64 v84, v83, v84, s0
	v_fma_f32 v83, -v85, v83, v82
	s_delay_alu instid0(VALU_DEP_1) | instskip(SKIP_1) | instid1(VALU_DEP_1)
	v_cmp_lt_f32_e64 s0, 0, v83
	s_wait_alu 0xf1ff
	v_cndmask_b32_e64 v83, v84, v85, s0
	s_delay_alu instid0(VALU_DEP_1) | instskip(NEXT) | instid1(VALU_DEP_1)
	v_mul_f32_e32 v84, 0x37800000, v83
	v_cndmask_b32_e32 v83, v83, v84, vcc_lo
	v_cmp_class_f32_e64 vcc_lo, v82, 0x260
	s_wait_alu 0xfffd
	s_delay_alu instid0(VALU_DEP_2) | instskip(NEXT) | instid1(VALU_DEP_1)
	v_cndmask_b32_e32 v82, v83, v82, vcc_lo
	v_sub_f32_e32 v83, v82, v81
	v_fma_f32 v82, -v80, v82, 1.0
	s_delay_alu instid0(VALU_DEP_2) | instskip(SKIP_3) | instid1(VALU_DEP_1)
	v_cmp_gt_f32_e32 vcc_lo, 0, v83
	v_cmp_gt_f32_e64 s0, s30, v83
	s_wait_alu 0xfffd
	v_cndmask_b32_e64 v84, 0, 0x42980000, vcc_lo
	v_fmac_f32_e32 v102, v82, v84
	v_fma_f32 v82, -s31, v83, 1.0
	s_wait_alu 0xf1ff
	v_cndmask_b32_e64 v84, 0, 1.0, s0
	v_cmp_gt_f32_e64 s0, s27, v83
	s_delay_alu instid0(VALU_DEP_3) | instskip(SKIP_1) | instid1(VALU_DEP_1)
	v_cndmask_b32_e64 v82, v82, 1.0, vcc_lo
	s_and_b32 s0, s26, s0
	v_mul_f32_e32 v82, v84, v82
	v_sub_f32_e32 v84, v42, v30
	s_delay_alu instid0(VALU_DEP_2) | instskip(NEXT) | instid1(VALU_DEP_1)
	v_mul_f32_e32 v82, v79, v82
	v_cndmask_b32_e64 v82, v82, -|v82|, s29
	s_delay_alu instid0(VALU_DEP_1) | instskip(SKIP_3) | instid1(VALU_DEP_2)
	v_fmac_f32_e32 v102, 0x42340000, v82
	v_fma_f32 v82, -v31, v83, 1.0
	s_wait_alu 0xfffe
	v_cndmask_b32_e64 v83, 0, 1.0, s0
	v_cndmask_b32_e64 v82, v82, 1.0, vcc_lo
	s_delay_alu instid0(VALU_DEP_2) | instskip(NEXT) | instid1(VALU_DEP_1)
	v_mul_f32_e32 v83, s28, v83
	v_dual_fmac_f32 v102, v82, v83 :: v_dual_sub_f32 v83, v41, v29
	s_delay_alu instid0(VALU_DEP_1) | instskip(NEXT) | instid1(VALU_DEP_1)
	v_dual_sub_f32 v82, v40, v28 :: v_dual_mul_f32 v83, v83, v83
	v_fmac_f32_e32 v83, v82, v82
	s_delay_alu instid0(VALU_DEP_1) | instskip(NEXT) | instid1(VALU_DEP_1)
	v_fmac_f32_e32 v83, v84, v84
	v_cmp_gt_f32_e32 vcc_lo, 0xf800000, v83
	v_mul_f32_e32 v82, 0x4f800000, v83
	s_wait_alu 0xfffd
	s_delay_alu instid0(VALU_DEP_1) | instskip(NEXT) | instid1(VALU_DEP_1)
	v_cndmask_b32_e32 v82, v83, v82, vcc_lo
	v_sqrt_f32_e32 v83, v82
	s_delay_alu instid0(TRANS32_DEP_1) | instskip(NEXT) | instid1(VALU_DEP_1)
	v_add_nc_u32_e32 v84, -1, v83
	v_fma_f32 v85, -v84, v83, v82
	s_delay_alu instid0(VALU_DEP_1) | instskip(SKIP_2) | instid1(VALU_DEP_2)
	v_cmp_ge_f32_e64 s0, 0, v85
	v_add_nc_u32_e32 v85, 1, v83
	s_wait_alu 0xf1ff
	v_cndmask_b32_e64 v84, v83, v84, s0
	s_delay_alu instid0(VALU_DEP_2) | instskip(NEXT) | instid1(VALU_DEP_1)
	v_fma_f32 v83, -v85, v83, v82
	v_cmp_lt_f32_e64 s0, 0, v83
	s_wait_alu 0xf1ff
	s_delay_alu instid0(VALU_DEP_1) | instskip(NEXT) | instid1(VALU_DEP_1)
	v_cndmask_b32_e64 v83, v84, v85, s0
	v_mul_f32_e32 v84, 0x37800000, v83
	s_delay_alu instid0(VALU_DEP_1) | instskip(SKIP_2) | instid1(VALU_DEP_2)
	v_cndmask_b32_e32 v83, v83, v84, vcc_lo
	v_cmp_class_f32_e64 vcc_lo, v82, 0x260
	s_wait_alu 0xfffd
	v_cndmask_b32_e32 v82, v83, v82, vcc_lo
	s_delay_alu instid0(VALU_DEP_1) | instskip(SKIP_1) | instid1(VALU_DEP_2)
	v_sub_f32_e32 v83, v82, v81
	v_fma_f32 v82, -v80, v82, 1.0
	v_cmp_gt_f32_e32 vcc_lo, 0, v83
	v_cmp_gt_f32_e64 s0, s30, v83
	s_wait_alu 0xfffd
	v_cndmask_b32_e64 v84, 0, 0x42980000, vcc_lo
	s_delay_alu instid0(VALU_DEP_1) | instskip(SKIP_4) | instid1(VALU_DEP_3)
	v_fmac_f32_e32 v103, v82, v84
	v_fma_f32 v82, -s31, v83, 1.0
	s_wait_alu 0xf1ff
	v_cndmask_b32_e64 v84, 0, 1.0, s0
	v_cmp_gt_f32_e64 s0, s27, v83
	v_cndmask_b32_e64 v82, v82, 1.0, vcc_lo
	s_and_b32 s0, s26, s0
	s_delay_alu instid0(VALU_DEP_1) | instskip(SKIP_1) | instid1(VALU_DEP_2)
	v_mul_f32_e32 v82, v84, v82
	v_sub_f32_e32 v84, v45, v30
	v_mul_f32_e32 v82, v79, v82
	s_delay_alu instid0(VALU_DEP_1) | instskip(NEXT) | instid1(VALU_DEP_1)
	v_cndmask_b32_e64 v82, v82, -|v82|, s29
	v_fmac_f32_e32 v103, 0x42340000, v82
	v_fma_f32 v82, -v31, v83, 1.0
	s_wait_alu 0xfffe
	v_cndmask_b32_e64 v83, 0, 1.0, s0
	s_delay_alu instid0(VALU_DEP_2) | instskip(NEXT) | instid1(VALU_DEP_2)
	v_cndmask_b32_e64 v82, v82, 1.0, vcc_lo
	v_mul_f32_e32 v83, s28, v83
	s_delay_alu instid0(VALU_DEP_1) | instskip(SKIP_1) | instid1(VALU_DEP_1)
	v_fmac_f32_e32 v103, v82, v83
	v_dual_sub_f32 v83, v44, v29 :: v_dual_sub_f32 v82, v43, v28
	v_mul_f32_e32 v83, v83, v83
	s_delay_alu instid0(VALU_DEP_1) | instskip(NEXT) | instid1(VALU_DEP_1)
	v_fmac_f32_e32 v83, v82, v82
	v_fmac_f32_e32 v83, v84, v84
	s_delay_alu instid0(VALU_DEP_1) | instskip(SKIP_2) | instid1(VALU_DEP_1)
	v_cmp_gt_f32_e32 vcc_lo, 0xf800000, v83
	v_mul_f32_e32 v82, 0x4f800000, v83
	s_wait_alu 0xfffd
	v_cndmask_b32_e32 v82, v83, v82, vcc_lo
	s_delay_alu instid0(VALU_DEP_1) | instskip(NEXT) | instid1(TRANS32_DEP_1)
	v_sqrt_f32_e32 v83, v82
	v_add_nc_u32_e32 v84, -1, v83
	s_delay_alu instid0(VALU_DEP_1) | instskip(NEXT) | instid1(VALU_DEP_1)
	v_fma_f32 v85, -v84, v83, v82
	v_cmp_ge_f32_e64 s0, 0, v85
	v_add_nc_u32_e32 v85, 1, v83
	s_wait_alu 0xf1ff
	s_delay_alu instid0(VALU_DEP_2) | instskip(NEXT) | instid1(VALU_DEP_2)
	v_cndmask_b32_e64 v84, v83, v84, s0
	v_fma_f32 v83, -v85, v83, v82
	s_delay_alu instid0(VALU_DEP_1) | instskip(SKIP_1) | instid1(VALU_DEP_1)
	v_cmp_lt_f32_e64 s0, 0, v83
	s_wait_alu 0xf1ff
	v_cndmask_b32_e64 v83, v84, v85, s0
	s_delay_alu instid0(VALU_DEP_1) | instskip(NEXT) | instid1(VALU_DEP_1)
	v_mul_f32_e32 v84, 0x37800000, v83
	v_cndmask_b32_e32 v83, v83, v84, vcc_lo
	v_cmp_class_f32_e64 vcc_lo, v82, 0x260
	s_wait_alu 0xfffd
	s_delay_alu instid0(VALU_DEP_2) | instskip(NEXT) | instid1(VALU_DEP_1)
	v_cndmask_b32_e32 v82, v83, v82, vcc_lo
	v_sub_f32_e32 v83, v82, v81
	v_fma_f32 v82, -v80, v82, 1.0
	s_delay_alu instid0(VALU_DEP_2) | instskip(SKIP_3) | instid1(VALU_DEP_1)
	v_cmp_gt_f32_e32 vcc_lo, 0, v83
	v_cmp_gt_f32_e64 s0, s30, v83
	s_wait_alu 0xfffd
	v_cndmask_b32_e64 v84, 0, 0x42980000, vcc_lo
	v_fmac_f32_e32 v92, v82, v84
	v_fma_f32 v82, -s31, v83, 1.0
	s_wait_alu 0xf1ff
	v_cndmask_b32_e64 v84, 0, 1.0, s0
	v_cmp_gt_f32_e64 s0, s27, v83
	s_delay_alu instid0(VALU_DEP_3) | instskip(SKIP_1) | instid1(VALU_DEP_1)
	v_cndmask_b32_e64 v82, v82, 1.0, vcc_lo
	s_and_b32 s0, s26, s0
	v_mul_f32_e32 v82, v84, v82
	v_sub_f32_e32 v84, v48, v30
	s_delay_alu instid0(VALU_DEP_2) | instskip(NEXT) | instid1(VALU_DEP_1)
	v_mul_f32_e32 v82, v79, v82
	v_cndmask_b32_e64 v82, v82, -|v82|, s29
	s_delay_alu instid0(VALU_DEP_1) | instskip(SKIP_3) | instid1(VALU_DEP_2)
	v_fmac_f32_e32 v92, 0x42340000, v82
	v_fma_f32 v82, -v31, v83, 1.0
	s_wait_alu 0xfffe
	v_cndmask_b32_e64 v83, 0, 1.0, s0
	v_cndmask_b32_e64 v82, v82, 1.0, vcc_lo
	s_delay_alu instid0(VALU_DEP_2) | instskip(NEXT) | instid1(VALU_DEP_1)
	v_mul_f32_e32 v83, s28, v83
	v_dual_fmac_f32 v92, v82, v83 :: v_dual_sub_f32 v83, v47, v29
	s_delay_alu instid0(VALU_DEP_1) | instskip(NEXT) | instid1(VALU_DEP_1)
	v_dual_sub_f32 v82, v46, v28 :: v_dual_mul_f32 v83, v83, v83
	v_fmac_f32_e32 v83, v82, v82
	s_delay_alu instid0(VALU_DEP_1) | instskip(NEXT) | instid1(VALU_DEP_1)
	v_fmac_f32_e32 v83, v84, v84
	v_cmp_gt_f32_e32 vcc_lo, 0xf800000, v83
	v_mul_f32_e32 v82, 0x4f800000, v83
	s_wait_alu 0xfffd
	s_delay_alu instid0(VALU_DEP_1) | instskip(NEXT) | instid1(VALU_DEP_1)
	v_cndmask_b32_e32 v82, v83, v82, vcc_lo
	v_sqrt_f32_e32 v83, v82
	s_delay_alu instid0(TRANS32_DEP_1) | instskip(NEXT) | instid1(VALU_DEP_1)
	v_add_nc_u32_e32 v84, -1, v83
	v_fma_f32 v85, -v84, v83, v82
	s_delay_alu instid0(VALU_DEP_1) | instskip(SKIP_2) | instid1(VALU_DEP_2)
	v_cmp_ge_f32_e64 s0, 0, v85
	v_add_nc_u32_e32 v85, 1, v83
	s_wait_alu 0xf1ff
	v_cndmask_b32_e64 v84, v83, v84, s0
	s_delay_alu instid0(VALU_DEP_2) | instskip(NEXT) | instid1(VALU_DEP_1)
	v_fma_f32 v83, -v85, v83, v82
	v_cmp_lt_f32_e64 s0, 0, v83
	s_wait_alu 0xf1ff
	s_delay_alu instid0(VALU_DEP_1) | instskip(NEXT) | instid1(VALU_DEP_1)
	v_cndmask_b32_e64 v83, v84, v85, s0
	v_mul_f32_e32 v84, 0x37800000, v83
	s_delay_alu instid0(VALU_DEP_1) | instskip(SKIP_2) | instid1(VALU_DEP_2)
	v_cndmask_b32_e32 v83, v83, v84, vcc_lo
	v_cmp_class_f32_e64 vcc_lo, v82, 0x260
	s_wait_alu 0xfffd
	v_cndmask_b32_e32 v82, v83, v82, vcc_lo
	s_delay_alu instid0(VALU_DEP_1) | instskip(SKIP_1) | instid1(VALU_DEP_2)
	v_sub_f32_e32 v83, v82, v81
	v_fma_f32 v82, -v80, v82, 1.0
	v_cmp_gt_f32_e32 vcc_lo, 0, v83
	v_cmp_gt_f32_e64 s0, s30, v83
	s_wait_alu 0xfffd
	v_cndmask_b32_e64 v84, 0, 0x42980000, vcc_lo
	s_delay_alu instid0(VALU_DEP_1) | instskip(SKIP_4) | instid1(VALU_DEP_3)
	v_fmac_f32_e32 v93, v82, v84
	v_fma_f32 v82, -s31, v83, 1.0
	s_wait_alu 0xf1ff
	v_cndmask_b32_e64 v84, 0, 1.0, s0
	v_cmp_gt_f32_e64 s0, s27, v83
	v_cndmask_b32_e64 v82, v82, 1.0, vcc_lo
	s_and_b32 s0, s26, s0
	s_delay_alu instid0(VALU_DEP_1) | instskip(SKIP_1) | instid1(VALU_DEP_2)
	v_mul_f32_e32 v82, v84, v82
	v_sub_f32_e32 v84, v51, v30
	v_mul_f32_e32 v82, v79, v82
	s_delay_alu instid0(VALU_DEP_1) | instskip(NEXT) | instid1(VALU_DEP_1)
	v_cndmask_b32_e64 v82, v82, -|v82|, s29
	v_fmac_f32_e32 v93, 0x42340000, v82
	v_fma_f32 v82, -v31, v83, 1.0
	s_wait_alu 0xfffe
	v_cndmask_b32_e64 v83, 0, 1.0, s0
	s_delay_alu instid0(VALU_DEP_2) | instskip(NEXT) | instid1(VALU_DEP_2)
	v_cndmask_b32_e64 v82, v82, 1.0, vcc_lo
	v_mul_f32_e32 v83, s28, v83
	s_delay_alu instid0(VALU_DEP_1) | instskip(SKIP_1) | instid1(VALU_DEP_1)
	v_fmac_f32_e32 v93, v82, v83
	v_dual_sub_f32 v83, v50, v29 :: v_dual_sub_f32 v82, v49, v28
	v_mul_f32_e32 v83, v83, v83
	s_delay_alu instid0(VALU_DEP_1) | instskip(NEXT) | instid1(VALU_DEP_1)
	v_fmac_f32_e32 v83, v82, v82
	v_fmac_f32_e32 v83, v84, v84
	s_delay_alu instid0(VALU_DEP_1) | instskip(SKIP_2) | instid1(VALU_DEP_1)
	v_cmp_gt_f32_e32 vcc_lo, 0xf800000, v83
	v_mul_f32_e32 v82, 0x4f800000, v83
	s_wait_alu 0xfffd
	v_cndmask_b32_e32 v82, v83, v82, vcc_lo
	s_delay_alu instid0(VALU_DEP_1) | instskip(NEXT) | instid1(TRANS32_DEP_1)
	v_sqrt_f32_e32 v83, v82
	v_add_nc_u32_e32 v84, -1, v83
	s_delay_alu instid0(VALU_DEP_1) | instskip(NEXT) | instid1(VALU_DEP_1)
	v_fma_f32 v85, -v84, v83, v82
	v_cmp_ge_f32_e64 s0, 0, v85
	v_add_nc_u32_e32 v85, 1, v83
	s_wait_alu 0xf1ff
	s_delay_alu instid0(VALU_DEP_2) | instskip(NEXT) | instid1(VALU_DEP_2)
	v_cndmask_b32_e64 v84, v83, v84, s0
	v_fma_f32 v83, -v85, v83, v82
	s_delay_alu instid0(VALU_DEP_1) | instskip(SKIP_1) | instid1(VALU_DEP_1)
	v_cmp_lt_f32_e64 s0, 0, v83
	s_wait_alu 0xf1ff
	v_cndmask_b32_e64 v83, v84, v85, s0
	s_delay_alu instid0(VALU_DEP_1) | instskip(NEXT) | instid1(VALU_DEP_1)
	v_mul_f32_e32 v84, 0x37800000, v83
	v_cndmask_b32_e32 v83, v83, v84, vcc_lo
	v_cmp_class_f32_e64 vcc_lo, v82, 0x260
	s_wait_alu 0xfffd
	s_delay_alu instid0(VALU_DEP_2) | instskip(NEXT) | instid1(VALU_DEP_1)
	v_cndmask_b32_e32 v82, v83, v82, vcc_lo
	v_sub_f32_e32 v83, v82, v81
	v_fma_f32 v82, -v80, v82, 1.0
	s_delay_alu instid0(VALU_DEP_2) | instskip(SKIP_3) | instid1(VALU_DEP_1)
	v_cmp_gt_f32_e32 vcc_lo, 0, v83
	v_cmp_gt_f32_e64 s0, s30, v83
	s_wait_alu 0xfffd
	v_cndmask_b32_e64 v84, 0, 0x42980000, vcc_lo
	v_fmac_f32_e32 v94, v82, v84
	v_fma_f32 v82, -s31, v83, 1.0
	s_wait_alu 0xf1ff
	v_cndmask_b32_e64 v84, 0, 1.0, s0
	v_cmp_gt_f32_e64 s0, s27, v83
	s_delay_alu instid0(VALU_DEP_3) | instskip(SKIP_1) | instid1(VALU_DEP_1)
	v_cndmask_b32_e64 v82, v82, 1.0, vcc_lo
	s_and_b32 s0, s26, s0
	v_mul_f32_e32 v82, v84, v82
	v_sub_f32_e32 v84, v54, v30
	s_delay_alu instid0(VALU_DEP_2) | instskip(NEXT) | instid1(VALU_DEP_1)
	v_mul_f32_e32 v82, v79, v82
	v_cndmask_b32_e64 v82, v82, -|v82|, s29
	s_delay_alu instid0(VALU_DEP_1) | instskip(SKIP_3) | instid1(VALU_DEP_2)
	v_fmac_f32_e32 v94, 0x42340000, v82
	v_fma_f32 v82, -v31, v83, 1.0
	s_wait_alu 0xfffe
	v_cndmask_b32_e64 v83, 0, 1.0, s0
	v_cndmask_b32_e64 v82, v82, 1.0, vcc_lo
	s_delay_alu instid0(VALU_DEP_2) | instskip(NEXT) | instid1(VALU_DEP_1)
	v_mul_f32_e32 v83, s28, v83
	v_dual_fmac_f32 v94, v82, v83 :: v_dual_sub_f32 v83, v53, v29
	s_delay_alu instid0(VALU_DEP_1) | instskip(NEXT) | instid1(VALU_DEP_1)
	v_dual_sub_f32 v82, v52, v28 :: v_dual_mul_f32 v83, v83, v83
	v_fmac_f32_e32 v83, v82, v82
	s_delay_alu instid0(VALU_DEP_1) | instskip(NEXT) | instid1(VALU_DEP_1)
	v_fmac_f32_e32 v83, v84, v84
	v_cmp_gt_f32_e32 vcc_lo, 0xf800000, v83
	v_mul_f32_e32 v82, 0x4f800000, v83
	s_wait_alu 0xfffd
	s_delay_alu instid0(VALU_DEP_1) | instskip(NEXT) | instid1(VALU_DEP_1)
	v_cndmask_b32_e32 v82, v83, v82, vcc_lo
	v_sqrt_f32_e32 v83, v82
	s_delay_alu instid0(TRANS32_DEP_1) | instskip(NEXT) | instid1(VALU_DEP_1)
	v_add_nc_u32_e32 v84, -1, v83
	v_fma_f32 v85, -v84, v83, v82
	s_delay_alu instid0(VALU_DEP_1) | instskip(SKIP_2) | instid1(VALU_DEP_2)
	v_cmp_ge_f32_e64 s0, 0, v85
	v_add_nc_u32_e32 v85, 1, v83
	s_wait_alu 0xf1ff
	v_cndmask_b32_e64 v84, v83, v84, s0
	s_delay_alu instid0(VALU_DEP_2) | instskip(NEXT) | instid1(VALU_DEP_1)
	v_fma_f32 v83, -v85, v83, v82
	v_cmp_lt_f32_e64 s0, 0, v83
	s_wait_alu 0xf1ff
	s_delay_alu instid0(VALU_DEP_1) | instskip(NEXT) | instid1(VALU_DEP_1)
	v_cndmask_b32_e64 v83, v84, v85, s0
	v_mul_f32_e32 v84, 0x37800000, v83
	s_delay_alu instid0(VALU_DEP_1) | instskip(SKIP_2) | instid1(VALU_DEP_2)
	v_cndmask_b32_e32 v83, v83, v84, vcc_lo
	v_cmp_class_f32_e64 vcc_lo, v82, 0x260
	s_wait_alu 0xfffd
	v_cndmask_b32_e32 v82, v83, v82, vcc_lo
	s_delay_alu instid0(VALU_DEP_1) | instskip(SKIP_1) | instid1(VALU_DEP_2)
	v_sub_f32_e32 v83, v82, v81
	v_fma_f32 v82, -v80, v82, 1.0
	v_cmp_gt_f32_e32 vcc_lo, 0, v83
	v_cmp_gt_f32_e64 s0, s30, v83
	s_wait_alu 0xfffd
	v_cndmask_b32_e64 v84, 0, 0x42980000, vcc_lo
	s_delay_alu instid0(VALU_DEP_1) | instskip(SKIP_4) | instid1(VALU_DEP_3)
	v_fmac_f32_e32 v95, v82, v84
	v_fma_f32 v82, -s31, v83, 1.0
	s_wait_alu 0xf1ff
	v_cndmask_b32_e64 v84, 0, 1.0, s0
	v_cmp_gt_f32_e64 s0, s27, v83
	v_cndmask_b32_e64 v82, v82, 1.0, vcc_lo
	s_and_b32 s0, s26, s0
	s_delay_alu instid0(VALU_DEP_1) | instskip(SKIP_1) | instid1(VALU_DEP_2)
	v_mul_f32_e32 v82, v84, v82
	v_sub_f32_e32 v84, v57, v30
	v_mul_f32_e32 v82, v79, v82
	s_delay_alu instid0(VALU_DEP_1) | instskip(NEXT) | instid1(VALU_DEP_1)
	v_cndmask_b32_e64 v82, v82, -|v82|, s29
	v_fmac_f32_e32 v95, 0x42340000, v82
	v_fma_f32 v82, -v31, v83, 1.0
	s_wait_alu 0xfffe
	v_cndmask_b32_e64 v83, 0, 1.0, s0
	s_delay_alu instid0(VALU_DEP_2) | instskip(NEXT) | instid1(VALU_DEP_2)
	v_cndmask_b32_e64 v82, v82, 1.0, vcc_lo
	v_mul_f32_e32 v83, s28, v83
	s_delay_alu instid0(VALU_DEP_1) | instskip(SKIP_1) | instid1(VALU_DEP_1)
	v_fmac_f32_e32 v95, v82, v83
	v_dual_sub_f32 v83, v56, v29 :: v_dual_sub_f32 v82, v55, v28
	v_mul_f32_e32 v83, v83, v83
	s_delay_alu instid0(VALU_DEP_1) | instskip(NEXT) | instid1(VALU_DEP_1)
	v_fmac_f32_e32 v83, v82, v82
	v_fmac_f32_e32 v83, v84, v84
	s_delay_alu instid0(VALU_DEP_1) | instskip(SKIP_2) | instid1(VALU_DEP_1)
	v_cmp_gt_f32_e32 vcc_lo, 0xf800000, v83
	v_mul_f32_e32 v82, 0x4f800000, v83
	s_wait_alu 0xfffd
	v_cndmask_b32_e32 v82, v83, v82, vcc_lo
	s_delay_alu instid0(VALU_DEP_1) | instskip(NEXT) | instid1(TRANS32_DEP_1)
	v_sqrt_f32_e32 v83, v82
	v_add_nc_u32_e32 v84, -1, v83
	s_delay_alu instid0(VALU_DEP_1) | instskip(NEXT) | instid1(VALU_DEP_1)
	v_fma_f32 v85, -v84, v83, v82
	v_cmp_ge_f32_e64 s0, 0, v85
	v_add_nc_u32_e32 v85, 1, v83
	s_wait_alu 0xf1ff
	s_delay_alu instid0(VALU_DEP_2) | instskip(NEXT) | instid1(VALU_DEP_2)
	v_cndmask_b32_e64 v84, v83, v84, s0
	v_fma_f32 v83, -v85, v83, v82
	s_delay_alu instid0(VALU_DEP_1) | instskip(SKIP_1) | instid1(VALU_DEP_1)
	v_cmp_lt_f32_e64 s0, 0, v83
	s_wait_alu 0xf1ff
	v_cndmask_b32_e64 v83, v84, v85, s0
	s_delay_alu instid0(VALU_DEP_1) | instskip(NEXT) | instid1(VALU_DEP_1)
	v_mul_f32_e32 v84, 0x37800000, v83
	v_cndmask_b32_e32 v83, v83, v84, vcc_lo
	v_cmp_class_f32_e64 vcc_lo, v82, 0x260
	s_wait_alu 0xfffd
	s_delay_alu instid0(VALU_DEP_2) | instskip(NEXT) | instid1(VALU_DEP_1)
	v_cndmask_b32_e32 v82, v83, v82, vcc_lo
	v_sub_f32_e32 v83, v82, v81
	v_fma_f32 v82, -v80, v82, 1.0
	s_delay_alu instid0(VALU_DEP_2) | instskip(SKIP_3) | instid1(VALU_DEP_1)
	v_cmp_gt_f32_e32 vcc_lo, 0, v83
	v_cmp_gt_f32_e64 s0, s30, v83
	s_wait_alu 0xfffd
	v_cndmask_b32_e64 v84, 0, 0x42980000, vcc_lo
	v_fmac_f32_e32 v4, v82, v84
	v_fma_f32 v82, -s31, v83, 1.0
	s_wait_alu 0xf1ff
	v_cndmask_b32_e64 v84, 0, 1.0, s0
	v_cmp_gt_f32_e64 s0, s27, v83
	s_delay_alu instid0(VALU_DEP_3) | instskip(SKIP_1) | instid1(VALU_DEP_1)
	v_cndmask_b32_e64 v82, v82, 1.0, vcc_lo
	s_and_b32 s0, s26, s0
	v_mul_f32_e32 v82, v84, v82
	v_sub_f32_e32 v84, v60, v30
	s_delay_alu instid0(VALU_DEP_2) | instskip(NEXT) | instid1(VALU_DEP_1)
	v_mul_f32_e32 v82, v79, v82
	v_cndmask_b32_e64 v82, v82, -|v82|, s29
	s_delay_alu instid0(VALU_DEP_1) | instskip(SKIP_3) | instid1(VALU_DEP_2)
	v_fmac_f32_e32 v4, 0x42340000, v82
	v_fma_f32 v82, -v31, v83, 1.0
	s_wait_alu 0xfffe
	v_cndmask_b32_e64 v83, 0, 1.0, s0
	v_cndmask_b32_e64 v82, v82, 1.0, vcc_lo
	s_delay_alu instid0(VALU_DEP_2) | instskip(NEXT) | instid1(VALU_DEP_1)
	v_mul_f32_e32 v83, s28, v83
	v_dual_fmac_f32 v4, v82, v83 :: v_dual_sub_f32 v83, v59, v29
	s_delay_alu instid0(VALU_DEP_1) | instskip(NEXT) | instid1(VALU_DEP_1)
	v_dual_sub_f32 v82, v58, v28 :: v_dual_mul_f32 v83, v83, v83
	v_fmac_f32_e32 v83, v82, v82
	s_delay_alu instid0(VALU_DEP_1) | instskip(NEXT) | instid1(VALU_DEP_1)
	v_fmac_f32_e32 v83, v84, v84
	v_cmp_gt_f32_e32 vcc_lo, 0xf800000, v83
	v_mul_f32_e32 v82, 0x4f800000, v83
	s_wait_alu 0xfffd
	s_delay_alu instid0(VALU_DEP_1) | instskip(NEXT) | instid1(VALU_DEP_1)
	v_cndmask_b32_e32 v82, v83, v82, vcc_lo
	v_sqrt_f32_e32 v83, v82
	s_delay_alu instid0(TRANS32_DEP_1) | instskip(NEXT) | instid1(VALU_DEP_1)
	v_add_nc_u32_e32 v84, -1, v83
	v_fma_f32 v85, -v84, v83, v82
	s_delay_alu instid0(VALU_DEP_1) | instskip(SKIP_2) | instid1(VALU_DEP_2)
	v_cmp_ge_f32_e64 s0, 0, v85
	v_add_nc_u32_e32 v85, 1, v83
	s_wait_alu 0xf1ff
	v_cndmask_b32_e64 v84, v83, v84, s0
	s_delay_alu instid0(VALU_DEP_2) | instskip(NEXT) | instid1(VALU_DEP_1)
	v_fma_f32 v83, -v85, v83, v82
	v_cmp_lt_f32_e64 s0, 0, v83
	s_wait_alu 0xf1ff
	s_delay_alu instid0(VALU_DEP_1) | instskip(NEXT) | instid1(VALU_DEP_1)
	v_cndmask_b32_e64 v83, v84, v85, s0
	v_mul_f32_e32 v84, 0x37800000, v83
	s_delay_alu instid0(VALU_DEP_1) | instskip(SKIP_2) | instid1(VALU_DEP_2)
	v_cndmask_b32_e32 v83, v83, v84, vcc_lo
	v_cmp_class_f32_e64 vcc_lo, v82, 0x260
	s_wait_alu 0xfffd
	v_cndmask_b32_e32 v82, v83, v82, vcc_lo
	s_delay_alu instid0(VALU_DEP_1) | instskip(SKIP_1) | instid1(VALU_DEP_2)
	v_sub_f32_e32 v83, v82, v81
	v_fma_f32 v82, -v80, v82, 1.0
	v_cmp_gt_f32_e32 vcc_lo, 0, v83
	v_cmp_gt_f32_e64 s0, s30, v83
	s_wait_alu 0xfffd
	v_cndmask_b32_e64 v84, 0, 0x42980000, vcc_lo
	s_delay_alu instid0(VALU_DEP_1) | instskip(SKIP_4) | instid1(VALU_DEP_3)
	v_fmac_f32_e32 v5, v82, v84
	v_fma_f32 v82, -s31, v83, 1.0
	s_wait_alu 0xf1ff
	v_cndmask_b32_e64 v84, 0, 1.0, s0
	v_cmp_gt_f32_e64 s0, s27, v83
	v_cndmask_b32_e64 v82, v82, 1.0, vcc_lo
	s_and_b32 s0, s26, s0
	s_delay_alu instid0(VALU_DEP_1) | instskip(SKIP_1) | instid1(VALU_DEP_2)
	v_mul_f32_e32 v82, v84, v82
	v_sub_f32_e32 v84, v63, v30
	v_mul_f32_e32 v82, v79, v82
	s_delay_alu instid0(VALU_DEP_1) | instskip(NEXT) | instid1(VALU_DEP_1)
	v_cndmask_b32_e64 v82, v82, -|v82|, s29
	v_fmac_f32_e32 v5, 0x42340000, v82
	v_fma_f32 v82, -v31, v83, 1.0
	s_wait_alu 0xfffe
	v_cndmask_b32_e64 v83, 0, 1.0, s0
	s_delay_alu instid0(VALU_DEP_2) | instskip(NEXT) | instid1(VALU_DEP_2)
	v_cndmask_b32_e64 v82, v82, 1.0, vcc_lo
	v_mul_f32_e32 v83, s28, v83
	s_delay_alu instid0(VALU_DEP_1) | instskip(SKIP_1) | instid1(VALU_DEP_1)
	v_fmac_f32_e32 v5, v82, v83
	v_dual_sub_f32 v83, v62, v29 :: v_dual_sub_f32 v82, v61, v28
	v_mul_f32_e32 v83, v83, v83
	s_delay_alu instid0(VALU_DEP_1) | instskip(NEXT) | instid1(VALU_DEP_1)
	v_fmac_f32_e32 v83, v82, v82
	v_fmac_f32_e32 v83, v84, v84
	s_delay_alu instid0(VALU_DEP_1) | instskip(SKIP_2) | instid1(VALU_DEP_1)
	v_cmp_gt_f32_e32 vcc_lo, 0xf800000, v83
	v_mul_f32_e32 v82, 0x4f800000, v83
	s_wait_alu 0xfffd
	v_cndmask_b32_e32 v82, v83, v82, vcc_lo
	s_delay_alu instid0(VALU_DEP_1) | instskip(NEXT) | instid1(TRANS32_DEP_1)
	v_sqrt_f32_e32 v83, v82
	v_add_nc_u32_e32 v84, -1, v83
	s_delay_alu instid0(VALU_DEP_1) | instskip(NEXT) | instid1(VALU_DEP_1)
	v_fma_f32 v85, -v84, v83, v82
	v_cmp_ge_f32_e64 s0, 0, v85
	v_add_nc_u32_e32 v85, 1, v83
	s_wait_alu 0xf1ff
	s_delay_alu instid0(VALU_DEP_2) | instskip(NEXT) | instid1(VALU_DEP_2)
	v_cndmask_b32_e64 v84, v83, v84, s0
	v_fma_f32 v83, -v85, v83, v82
	s_delay_alu instid0(VALU_DEP_1) | instskip(SKIP_1) | instid1(VALU_DEP_1)
	v_cmp_lt_f32_e64 s0, 0, v83
	s_wait_alu 0xf1ff
	v_cndmask_b32_e64 v83, v84, v85, s0
	s_delay_alu instid0(VALU_DEP_1) | instskip(NEXT) | instid1(VALU_DEP_1)
	v_mul_f32_e32 v84, 0x37800000, v83
	v_cndmask_b32_e32 v83, v83, v84, vcc_lo
	v_cmp_class_f32_e64 vcc_lo, v82, 0x260
	s_wait_alu 0xfffd
	s_delay_alu instid0(VALU_DEP_2) | instskip(NEXT) | instid1(VALU_DEP_1)
	v_cndmask_b32_e32 v82, v83, v82, vcc_lo
	v_sub_f32_e32 v83, v82, v81
	v_fma_f32 v82, -v80, v82, 1.0
	s_delay_alu instid0(VALU_DEP_2) | instskip(SKIP_3) | instid1(VALU_DEP_1)
	v_cmp_gt_f32_e32 vcc_lo, 0, v83
	v_cmp_gt_f32_e64 s0, s30, v83
	s_wait_alu 0xfffd
	v_cndmask_b32_e64 v84, 0, 0x42980000, vcc_lo
	v_fmac_f32_e32 v6, v82, v84
	v_fma_f32 v82, -s31, v83, 1.0
	s_wait_alu 0xf1ff
	v_cndmask_b32_e64 v84, 0, 1.0, s0
	v_cmp_gt_f32_e64 s0, s27, v83
	s_delay_alu instid0(VALU_DEP_3) | instskip(SKIP_1) | instid1(VALU_DEP_1)
	v_cndmask_b32_e64 v82, v82, 1.0, vcc_lo
	s_and_b32 s0, s26, s0
	v_mul_f32_e32 v82, v84, v82
	v_sub_f32_e32 v84, v66, v30
	s_delay_alu instid0(VALU_DEP_2) | instskip(NEXT) | instid1(VALU_DEP_1)
	v_mul_f32_e32 v82, v79, v82
	v_cndmask_b32_e64 v82, v82, -|v82|, s29
	s_delay_alu instid0(VALU_DEP_1) | instskip(SKIP_3) | instid1(VALU_DEP_2)
	v_fmac_f32_e32 v6, 0x42340000, v82
	v_fma_f32 v82, -v31, v83, 1.0
	s_wait_alu 0xfffe
	v_cndmask_b32_e64 v83, 0, 1.0, s0
	v_cndmask_b32_e64 v82, v82, 1.0, vcc_lo
	s_delay_alu instid0(VALU_DEP_2) | instskip(NEXT) | instid1(VALU_DEP_1)
	v_mul_f32_e32 v83, s28, v83
	v_dual_fmac_f32 v6, v82, v83 :: v_dual_sub_f32 v83, v65, v29
	s_delay_alu instid0(VALU_DEP_1) | instskip(NEXT) | instid1(VALU_DEP_1)
	v_dual_sub_f32 v82, v64, v28 :: v_dual_mul_f32 v83, v83, v83
	v_fmac_f32_e32 v83, v82, v82
	s_delay_alu instid0(VALU_DEP_1) | instskip(NEXT) | instid1(VALU_DEP_1)
	v_fmac_f32_e32 v83, v84, v84
	v_cmp_gt_f32_e32 vcc_lo, 0xf800000, v83
	v_mul_f32_e32 v82, 0x4f800000, v83
	s_wait_alu 0xfffd
	s_delay_alu instid0(VALU_DEP_1) | instskip(NEXT) | instid1(VALU_DEP_1)
	v_cndmask_b32_e32 v82, v83, v82, vcc_lo
	v_sqrt_f32_e32 v83, v82
	s_delay_alu instid0(TRANS32_DEP_1) | instskip(NEXT) | instid1(VALU_DEP_1)
	v_add_nc_u32_e32 v84, -1, v83
	v_fma_f32 v85, -v84, v83, v82
	s_delay_alu instid0(VALU_DEP_1) | instskip(SKIP_2) | instid1(VALU_DEP_2)
	v_cmp_ge_f32_e64 s0, 0, v85
	v_add_nc_u32_e32 v85, 1, v83
	s_wait_alu 0xf1ff
	v_cndmask_b32_e64 v84, v83, v84, s0
	s_delay_alu instid0(VALU_DEP_2) | instskip(NEXT) | instid1(VALU_DEP_1)
	v_fma_f32 v83, -v85, v83, v82
	v_cmp_lt_f32_e64 s0, 0, v83
	s_wait_alu 0xf1ff
	s_delay_alu instid0(VALU_DEP_1) | instskip(NEXT) | instid1(VALU_DEP_1)
	v_cndmask_b32_e64 v83, v84, v85, s0
	v_mul_f32_e32 v84, 0x37800000, v83
	s_delay_alu instid0(VALU_DEP_1) | instskip(SKIP_2) | instid1(VALU_DEP_2)
	v_cndmask_b32_e32 v83, v83, v84, vcc_lo
	v_cmp_class_f32_e64 vcc_lo, v82, 0x260
	s_wait_alu 0xfffd
	v_cndmask_b32_e32 v82, v83, v82, vcc_lo
	s_delay_alu instid0(VALU_DEP_1) | instskip(SKIP_1) | instid1(VALU_DEP_2)
	v_sub_f32_e32 v83, v82, v81
	v_fma_f32 v82, -v80, v82, 1.0
	v_cmp_gt_f32_e32 vcc_lo, 0, v83
	v_cmp_gt_f32_e64 s0, s30, v83
	s_wait_alu 0xfffd
	v_cndmask_b32_e64 v84, 0, 0x42980000, vcc_lo
	s_delay_alu instid0(VALU_DEP_1) | instskip(SKIP_4) | instid1(VALU_DEP_3)
	v_fmac_f32_e32 v7, v82, v84
	v_fma_f32 v82, -s31, v83, 1.0
	s_wait_alu 0xf1ff
	v_cndmask_b32_e64 v84, 0, 1.0, s0
	v_cmp_gt_f32_e64 s0, s27, v83
	v_cndmask_b32_e64 v82, v82, 1.0, vcc_lo
	s_and_b32 s0, s26, s0
	s_delay_alu instid0(VALU_DEP_1) | instskip(SKIP_1) | instid1(VALU_DEP_2)
	v_mul_f32_e32 v82, v84, v82
	v_sub_f32_e32 v84, v69, v30
	v_mul_f32_e32 v82, v79, v82
	s_delay_alu instid0(VALU_DEP_1) | instskip(NEXT) | instid1(VALU_DEP_1)
	v_cndmask_b32_e64 v82, v82, -|v82|, s29
	v_fmac_f32_e32 v7, 0x42340000, v82
	v_fma_f32 v82, -v31, v83, 1.0
	s_wait_alu 0xfffe
	v_cndmask_b32_e64 v83, 0, 1.0, s0
	s_delay_alu instid0(VALU_DEP_2) | instskip(NEXT) | instid1(VALU_DEP_2)
	v_cndmask_b32_e64 v82, v82, 1.0, vcc_lo
	v_mul_f32_e32 v83, s28, v83
	s_delay_alu instid0(VALU_DEP_1) | instskip(SKIP_1) | instid1(VALU_DEP_1)
	v_dual_fmac_f32 v7, v82, v83 :: v_dual_sub_f32 v82, v67, v28
	v_sub_f32_e32 v83, v68, v29
	v_mul_f32_e32 v83, v83, v83
	s_delay_alu instid0(VALU_DEP_1) | instskip(NEXT) | instid1(VALU_DEP_1)
	v_fmac_f32_e32 v83, v82, v82
	v_fmac_f32_e32 v83, v84, v84
	s_delay_alu instid0(VALU_DEP_1) | instskip(SKIP_2) | instid1(VALU_DEP_1)
	v_cmp_gt_f32_e32 vcc_lo, 0xf800000, v83
	v_mul_f32_e32 v82, 0x4f800000, v83
	s_wait_alu 0xfffd
	v_cndmask_b32_e32 v82, v83, v82, vcc_lo
	s_delay_alu instid0(VALU_DEP_1) | instskip(NEXT) | instid1(TRANS32_DEP_1)
	v_sqrt_f32_e32 v83, v82
	v_add_nc_u32_e32 v84, -1, v83
	s_delay_alu instid0(VALU_DEP_1) | instskip(NEXT) | instid1(VALU_DEP_1)
	v_fma_f32 v85, -v84, v83, v82
	v_cmp_ge_f32_e64 s0, 0, v85
	v_add_nc_u32_e32 v85, 1, v83
	s_wait_alu 0xf1ff
	s_delay_alu instid0(VALU_DEP_2) | instskip(NEXT) | instid1(VALU_DEP_2)
	v_cndmask_b32_e64 v84, v83, v84, s0
	v_fma_f32 v83, -v85, v83, v82
	s_delay_alu instid0(VALU_DEP_1) | instskip(SKIP_1) | instid1(VALU_DEP_1)
	v_cmp_lt_f32_e64 s0, 0, v83
	s_wait_alu 0xf1ff
	v_cndmask_b32_e64 v83, v84, v85, s0
	s_delay_alu instid0(VALU_DEP_1) | instskip(NEXT) | instid1(VALU_DEP_1)
	v_mul_f32_e32 v84, 0x37800000, v83
	v_cndmask_b32_e32 v83, v83, v84, vcc_lo
	v_cmp_class_f32_e64 vcc_lo, v82, 0x260
	s_wait_alu 0xfffd
	s_delay_alu instid0(VALU_DEP_2) | instskip(NEXT) | instid1(VALU_DEP_1)
	v_cndmask_b32_e32 v82, v83, v82, vcc_lo
	v_sub_f32_e32 v83, v82, v81
	v_fma_f32 v82, -v80, v82, 1.0
	s_delay_alu instid0(VALU_DEP_2) | instskip(SKIP_3) | instid1(VALU_DEP_1)
	v_cmp_gt_f32_e32 vcc_lo, 0, v83
	v_cmp_gt_f32_e64 s0, s30, v83
	s_wait_alu 0xfffd
	v_cndmask_b32_e64 v84, 0, 0x42980000, vcc_lo
	v_fmac_f32_e32 v0, v82, v84
	v_fma_f32 v82, -s31, v83, 1.0
	s_wait_alu 0xf1ff
	v_cndmask_b32_e64 v84, 0, 1.0, s0
	v_cmp_gt_f32_e64 s0, s27, v83
	s_delay_alu instid0(VALU_DEP_3) | instskip(SKIP_1) | instid1(VALU_DEP_1)
	v_cndmask_b32_e64 v82, v82, 1.0, vcc_lo
	s_and_b32 s0, s26, s0
	v_mul_f32_e32 v82, v84, v82
	v_sub_f32_e32 v84, v72, v30
	s_delay_alu instid0(VALU_DEP_2) | instskip(NEXT) | instid1(VALU_DEP_1)
	v_mul_f32_e32 v82, v79, v82
	v_cndmask_b32_e64 v82, v82, -|v82|, s29
	s_delay_alu instid0(VALU_DEP_1) | instskip(SKIP_3) | instid1(VALU_DEP_2)
	v_fmac_f32_e32 v0, 0x42340000, v82
	v_fma_f32 v82, -v31, v83, 1.0
	s_wait_alu 0xfffe
	v_cndmask_b32_e64 v83, 0, 1.0, s0
	v_cndmask_b32_e64 v82, v82, 1.0, vcc_lo
	s_delay_alu instid0(VALU_DEP_2) | instskip(NEXT) | instid1(VALU_DEP_1)
	v_mul_f32_e32 v83, s28, v83
	v_dual_fmac_f32 v0, v82, v83 :: v_dual_sub_f32 v83, v71, v29
	s_delay_alu instid0(VALU_DEP_1) | instskip(NEXT) | instid1(VALU_DEP_1)
	v_dual_sub_f32 v82, v70, v28 :: v_dual_mul_f32 v83, v83, v83
	v_fmac_f32_e32 v83, v82, v82
	s_delay_alu instid0(VALU_DEP_1) | instskip(NEXT) | instid1(VALU_DEP_1)
	v_fmac_f32_e32 v83, v84, v84
	v_cmp_gt_f32_e32 vcc_lo, 0xf800000, v83
	v_mul_f32_e32 v82, 0x4f800000, v83
	s_wait_alu 0xfffd
	s_delay_alu instid0(VALU_DEP_1) | instskip(NEXT) | instid1(VALU_DEP_1)
	v_cndmask_b32_e32 v82, v83, v82, vcc_lo
	v_sqrt_f32_e32 v83, v82
	s_delay_alu instid0(TRANS32_DEP_1) | instskip(NEXT) | instid1(VALU_DEP_1)
	v_add_nc_u32_e32 v84, -1, v83
	v_fma_f32 v85, -v84, v83, v82
	s_delay_alu instid0(VALU_DEP_1) | instskip(SKIP_2) | instid1(VALU_DEP_2)
	v_cmp_ge_f32_e64 s0, 0, v85
	v_add_nc_u32_e32 v85, 1, v83
	s_wait_alu 0xf1ff
	v_cndmask_b32_e64 v84, v83, v84, s0
	s_delay_alu instid0(VALU_DEP_2) | instskip(NEXT) | instid1(VALU_DEP_1)
	v_fma_f32 v83, -v85, v83, v82
	v_cmp_lt_f32_e64 s0, 0, v83
	s_wait_alu 0xf1ff
	s_delay_alu instid0(VALU_DEP_1) | instskip(NEXT) | instid1(VALU_DEP_1)
	v_cndmask_b32_e64 v83, v84, v85, s0
	v_mul_f32_e32 v84, 0x37800000, v83
	s_delay_alu instid0(VALU_DEP_1) | instskip(SKIP_2) | instid1(VALU_DEP_2)
	v_cndmask_b32_e32 v83, v83, v84, vcc_lo
	v_cmp_class_f32_e64 vcc_lo, v82, 0x260
	s_wait_alu 0xfffd
	v_cndmask_b32_e32 v82, v83, v82, vcc_lo
	s_delay_alu instid0(VALU_DEP_1) | instskip(SKIP_1) | instid1(VALU_DEP_2)
	v_sub_f32_e32 v83, v82, v81
	v_fma_f32 v82, -v80, v82, 1.0
	v_cmp_gt_f32_e32 vcc_lo, 0, v83
	v_cmp_gt_f32_e64 s0, s30, v83
	s_wait_alu 0xfffd
	v_cndmask_b32_e64 v84, 0, 0x42980000, vcc_lo
	s_delay_alu instid0(VALU_DEP_1) | instskip(SKIP_4) | instid1(VALU_DEP_3)
	v_fmac_f32_e32 v1, v82, v84
	v_fma_f32 v82, -s31, v83, 1.0
	s_wait_alu 0xf1ff
	v_cndmask_b32_e64 v84, 0, 1.0, s0
	v_cmp_gt_f32_e64 s0, s27, v83
	v_cndmask_b32_e64 v82, v82, 1.0, vcc_lo
	s_and_b32 s0, s26, s0
	s_delay_alu instid0(VALU_DEP_1) | instskip(NEXT) | instid1(VALU_DEP_1)
	v_mul_f32_e32 v82, v84, v82
	v_mul_f32_e32 v82, v79, v82
	s_delay_alu instid0(VALU_DEP_1) | instskip(NEXT) | instid1(VALU_DEP_1)
	v_cndmask_b32_e64 v82, v82, -|v82|, s29
	v_fmac_f32_e32 v1, 0x42340000, v82
	v_fma_f32 v82, -v31, v83, 1.0
	s_wait_alu 0xfffe
	v_cndmask_b32_e64 v83, 0, 1.0, s0
	s_delay_alu instid0(VALU_DEP_2) | instskip(NEXT) | instid1(VALU_DEP_2)
	v_cndmask_b32_e64 v82, v82, 1.0, vcc_lo
	v_mul_f32_e32 v83, s28, v83
	s_delay_alu instid0(VALU_DEP_1) | instskip(SKIP_2) | instid1(VALU_DEP_2)
	v_fmac_f32_e32 v1, v82, v83
	v_dual_sub_f32 v83, v74, v29 :: v_dual_sub_f32 v82, v73, v28
	v_dual_sub_f32 v29, v77, v29 :: v_dual_sub_f32 v84, v75, v30
	v_mul_f32_e32 v83, v83, v83
	s_delay_alu instid0(VALU_DEP_2) | instskip(NEXT) | instid1(VALU_DEP_2)
	v_mul_f32_e32 v29, v29, v29
	v_fmac_f32_e32 v83, v82, v82
	s_delay_alu instid0(VALU_DEP_1) | instskip(NEXT) | instid1(VALU_DEP_1)
	v_fmac_f32_e32 v83, v84, v84
	v_cmp_gt_f32_e32 vcc_lo, 0xf800000, v83
	v_mul_f32_e32 v82, 0x4f800000, v83
	s_wait_alu 0xfffd
	s_delay_alu instid0(VALU_DEP_1) | instskip(NEXT) | instid1(VALU_DEP_1)
	v_cndmask_b32_e32 v82, v83, v82, vcc_lo
	v_sqrt_f32_e32 v83, v82
	s_delay_alu instid0(TRANS32_DEP_1) | instskip(NEXT) | instid1(VALU_DEP_1)
	v_add_nc_u32_e32 v84, -1, v83
	v_fma_f32 v85, -v84, v83, v82
	s_delay_alu instid0(VALU_DEP_1) | instskip(SKIP_2) | instid1(VALU_DEP_2)
	v_cmp_ge_f32_e64 s0, 0, v85
	v_add_nc_u32_e32 v85, 1, v83
	s_wait_alu 0xf1ff
	v_cndmask_b32_e64 v84, v83, v84, s0
	s_delay_alu instid0(VALU_DEP_2) | instskip(NEXT) | instid1(VALU_DEP_1)
	v_fma_f32 v83, -v85, v83, v82
	v_cmp_lt_f32_e64 s0, 0, v83
	s_wait_alu 0xf1ff
	s_delay_alu instid0(VALU_DEP_1) | instskip(NEXT) | instid1(VALU_DEP_1)
	v_cndmask_b32_e64 v83, v84, v85, s0
	v_mul_f32_e32 v84, 0x37800000, v83
	s_delay_alu instid0(VALU_DEP_1) | instskip(SKIP_2) | instid1(VALU_DEP_2)
	v_cndmask_b32_e32 v83, v83, v84, vcc_lo
	v_cmp_class_f32_e64 vcc_lo, v82, 0x260
	s_wait_alu 0xfffd
	v_cndmask_b32_e32 v82, v83, v82, vcc_lo
	s_delay_alu instid0(VALU_DEP_1) | instskip(SKIP_1) | instid1(VALU_DEP_2)
	v_sub_f32_e32 v83, v82, v81
	v_fma_f32 v82, -v80, v82, 1.0
	v_cmp_gt_f32_e32 vcc_lo, 0, v83
	v_cmp_gt_f32_e64 s0, s30, v83
	s_wait_alu 0xfffd
	v_cndmask_b32_e64 v84, 0, 0x42980000, vcc_lo
	s_delay_alu instid0(VALU_DEP_1) | instskip(SKIP_4) | instid1(VALU_DEP_3)
	v_fmac_f32_e32 v2, v82, v84
	v_fma_f32 v82, -s31, v83, 1.0
	s_wait_alu 0xf1ff
	v_cndmask_b32_e64 v84, 0, 1.0, s0
	v_cmp_gt_f32_e64 s0, s27, v83
	v_cndmask_b32_e64 v82, v82, 1.0, vcc_lo
	s_and_b32 s0, s26, s0
	s_delay_alu instid0(VALU_DEP_1) | instskip(NEXT) | instid1(VALU_DEP_1)
	v_mul_f32_e32 v82, v84, v82
	v_mul_f32_e32 v82, v79, v82
	s_delay_alu instid0(VALU_DEP_1) | instskip(NEXT) | instid1(VALU_DEP_1)
	v_cndmask_b32_e64 v82, v82, -|v82|, s29
	v_fmac_f32_e32 v2, 0x42340000, v82
	v_fma_f32 v82, -v31, v83, 1.0
	s_wait_alu 0xfffe
	v_cndmask_b32_e64 v83, 0, 1.0, s0
	s_delay_alu instid0(VALU_DEP_2) | instskip(NEXT) | instid1(VALU_DEP_2)
	v_cndmask_b32_e64 v82, v82, 1.0, vcc_lo
	v_mul_f32_e32 v83, s28, v83
	s_delay_alu instid0(VALU_DEP_1) | instskip(SKIP_2) | instid1(VALU_DEP_2)
	v_fmac_f32_e32 v2, v82, v83
	v_sub_f32_e32 v82, v76, v28
	v_sub_f32_e32 v28, v78, v30
	v_fmac_f32_e32 v29, v82, v82
	s_delay_alu instid0(VALU_DEP_1) | instskip(NEXT) | instid1(VALU_DEP_1)
	v_fmac_f32_e32 v29, v28, v28
	v_cmp_gt_f32_e32 vcc_lo, 0xf800000, v29
	v_mul_f32_e32 v28, 0x4f800000, v29
	s_wait_alu 0xfffd
	s_delay_alu instid0(VALU_DEP_1) | instskip(NEXT) | instid1(VALU_DEP_1)
	v_cndmask_b32_e32 v28, v29, v28, vcc_lo
	v_sqrt_f32_e32 v29, v28
	s_delay_alu instid0(TRANS32_DEP_1) | instskip(NEXT) | instid1(VALU_DEP_1)
	v_add_nc_u32_e32 v30, -1, v29
	v_fma_f32 v82, -v30, v29, v28
	s_delay_alu instid0(VALU_DEP_1) | instskip(SKIP_2) | instid1(VALU_DEP_2)
	v_cmp_ge_f32_e64 s0, 0, v82
	v_add_nc_u32_e32 v82, 1, v29
	s_wait_alu 0xf1ff
	v_cndmask_b32_e64 v30, v29, v30, s0
	s_delay_alu instid0(VALU_DEP_2) | instskip(NEXT) | instid1(VALU_DEP_1)
	v_fma_f32 v29, -v82, v29, v28
	v_cmp_lt_f32_e64 s0, 0, v29
	s_wait_alu 0xf1ff
	s_delay_alu instid0(VALU_DEP_1) | instskip(NEXT) | instid1(VALU_DEP_1)
	v_cndmask_b32_e64 v29, v30, v82, s0
	v_mul_f32_e32 v30, 0x37800000, v29
	s_delay_alu instid0(VALU_DEP_1) | instskip(SKIP_2) | instid1(VALU_DEP_2)
	v_cndmask_b32_e32 v29, v29, v30, vcc_lo
	v_cmp_class_f32_e64 vcc_lo, v28, 0x260
	s_wait_alu 0xfffd
	v_cndmask_b32_e32 v29, v29, v28, vcc_lo
	s_delay_alu instid0(VALU_DEP_1) | instskip(SKIP_1) | instid1(VALU_DEP_2)
	v_sub_f32_e32 v28, v29, v81
	v_fma_f32 v29, -v80, v29, 1.0
	v_cmp_gt_f32_e32 vcc_lo, 0, v28
	v_cmp_gt_f32_e64 s0, s30, v28
	s_wait_alu 0xfffd
	v_cndmask_b32_e64 v30, 0, 0x42980000, vcc_lo
	s_delay_alu instid0(VALU_DEP_1) | instskip(SKIP_4) | instid1(VALU_DEP_3)
	v_fmac_f32_e32 v3, v29, v30
	v_fma_f32 v29, -s31, v28, 1.0
	s_wait_alu 0xf1ff
	v_cndmask_b32_e64 v30, 0, 1.0, s0
	v_cmp_gt_f32_e64 s0, s27, v28
	v_cndmask_b32_e64 v29, v29, 1.0, vcc_lo
	s_and_b32 s0, s26, s0
	s_cmp_lg_u32 s25, 0
	s_delay_alu instid0(VALU_DEP_1) | instskip(NEXT) | instid1(VALU_DEP_1)
	v_mul_f32_e32 v29, v30, v29
	v_mul_f32_e32 v29, v79, v29
	s_delay_alu instid0(VALU_DEP_1) | instskip(NEXT) | instid1(VALU_DEP_1)
	v_cndmask_b32_e64 v29, v29, -|v29|, s29
	v_fmac_f32_e32 v3, 0x42340000, v29
	v_fma_f32 v29, -v31, v28, 1.0
	s_wait_alu 0xfffe
	v_cndmask_b32_e64 v28, 0, 1.0, s0
	s_delay_alu instid0(VALU_DEP_2) | instskip(NEXT) | instid1(VALU_DEP_2)
	v_cndmask_b32_e64 v29, v29, 1.0, vcc_lo
	v_mul_f32_e32 v28, s28, v28
	s_delay_alu instid0(VALU_DEP_1)
	v_fmac_f32_e32 v3, v29, v28
	s_cbranch_scc1 .LBB4_28
; %bb.29:                               ;   in Loop: Header=BB4_27 Depth=1
	s_add_co_i32 s12, s12, 1
	s_wait_alu 0xfffe
	s_cmp_lg_u32 s12, s3
	s_cbranch_scc1 .LBB4_27
; %bb.30:
	s_clause 0x3
	scratch_store_b128 off, v[100:103], off
	scratch_store_b128 off, v[92:95], off offset:16
	scratch_store_b128 off, v[4:7], off offset:32
	;; [unrolled: 1-line block ×3, first 2 shown]
	s_and_saveexec_b32 s0, s2
	s_cbranch_execz .LBB4_32
; %bb.31:
	v_dual_mov_b32 v87, 0 :: v_dual_mul_f32 v14, 0.5, v100
	v_dual_mul_f32 v15, 0.5, v101 :: v_dual_mul_f32 v16, 0.5, v102
	v_mul_f32_e32 v18, 0.5, v92
	s_delay_alu instid0(VALU_DEP_3) | instskip(SKIP_2) | instid1(VALU_DEP_2)
	v_lshlrev_b64_e32 v[8:9], 2, v[86:87]
	v_add_nc_u32_e32 v86, s24, v86
	v_dual_mul_f32 v6, 0.5, v6 :: v_dual_mul_f32 v17, 0.5, v103
	v_lshlrev_b64_e32 v[10:11], 2, v[86:87]
	v_add_nc_u32_e32 v86, s24, v86
	v_add_co_u32 v8, vcc_lo, s4, v8
	s_wait_alu 0xfffd
	v_add_co_ci_u32_e64 v9, null, s5, v9, vcc_lo
	s_delay_alu instid0(VALU_DEP_3)
	v_lshlrev_b64_e32 v[12:13], 2, v[86:87]
	v_add_nc_u32_e32 v86, s24, v86
	v_add_co_u32 v10, vcc_lo, s4, v10
	s_wait_alu 0xfffd
	v_add_co_ci_u32_e64 v11, null, s5, v11, vcc_lo
	global_store_b32 v[8:9], v14, off
	v_lshlrev_b64_e32 v[8:9], 2, v[86:87]
	v_add_nc_u32_e32 v86, s24, v86
	global_store_b32 v[10:11], v15, off
	v_add_co_u32 v10, vcc_lo, s4, v12
	s_wait_alu 0xfffd
	v_add_co_ci_u32_e64 v11, null, s5, v13, vcc_lo
	v_lshlrev_b64_e32 v[12:13], 2, v[86:87]
	v_add_nc_u32_e32 v86, s24, v86
	v_add_co_u32 v8, vcc_lo, s4, v8
	s_wait_alu 0xfffd
	v_add_co_ci_u32_e64 v9, null, s5, v9, vcc_lo
	s_delay_alu instid0(VALU_DEP_4)
	v_add_co_u32 v12, vcc_lo, s4, v12
	v_lshlrev_b64_e32 v[14:15], 2, v[86:87]
	v_add_nc_u32_e32 v86, s24, v86
	s_wait_alu 0xfffd
	v_add_co_ci_u32_e64 v13, null, s5, v13, vcc_lo
	s_clause 0x2
	global_store_b32 v[10:11], v16, off
	global_store_b32 v[8:9], v17, off
	;; [unrolled: 1-line block ×3, first 2 shown]
	v_lshlrev_b64_e32 v[8:9], 2, v[86:87]
	v_add_nc_u32_e32 v86, s24, v86
	v_add_co_u32 v10, vcc_lo, s4, v14
	s_wait_alu 0xfffd
	v_add_co_ci_u32_e64 v11, null, s5, v15, vcc_lo
	s_delay_alu instid0(VALU_DEP_3)
	v_lshlrev_b64_e32 v[12:13], 2, v[86:87]
	v_add_nc_u32_e32 v86, s24, v86
	v_add_co_u32 v8, vcc_lo, s4, v8
	v_mul_f32_e32 v16, 0.5, v93
	s_wait_alu 0xfffd
	v_add_co_ci_u32_e64 v9, null, s5, v9, vcc_lo
	v_add_co_u32 v12, vcc_lo, s4, v12
	v_lshlrev_b64_e32 v[14:15], 2, v[86:87]
	v_add_nc_u32_e32 v86, s24, v86
	v_dual_mul_f32 v17, 0.5, v94 :: v_dual_mul_f32 v18, 0.5, v95
	s_wait_alu 0xfffd
	v_add_co_ci_u32_e64 v13, null, s5, v13, vcc_lo
	s_clause 0x2
	global_store_b32 v[10:11], v16, off
	global_store_b32 v[8:9], v17, off
	;; [unrolled: 1-line block ×3, first 2 shown]
	v_lshlrev_b64_e32 v[8:9], 2, v[86:87]
	v_add_nc_u32_e32 v86, s24, v86
	v_mul_f32_e32 v16, 0.5, v4
	v_add_co_u32 v10, vcc_lo, s4, v14
	v_mul_f32_e32 v14, 0.5, v5
	s_delay_alu instid0(VALU_DEP_4)
	v_lshlrev_b64_e32 v[4:5], 2, v[86:87]
	v_add_nc_u32_e32 v86, s24, v86
	s_wait_alu 0xfffd
	v_add_co_ci_u32_e64 v11, null, s5, v15, vcc_lo
	v_add_co_u32 v8, vcc_lo, s4, v8
	s_wait_alu 0xfffd
	v_add_co_ci_u32_e64 v9, null, s5, v9, vcc_lo
	v_add_co_u32 v4, vcc_lo, s4, v4
	v_lshlrev_b64_e32 v[12:13], 2, v[86:87]
	v_add_nc_u32_e32 v86, s24, v86
	s_wait_alu 0xfffd
	v_add_co_ci_u32_e64 v5, null, s5, v5, vcc_lo
	s_clause 0x2
	global_store_b32 v[10:11], v16, off
	global_store_b32 v[8:9], v14, off
	global_store_b32 v[4:5], v6, off
	v_lshlrev_b64_e32 v[4:5], 2, v[86:87]
	v_add_nc_u32_e32 v86, s24, v86
	v_add_co_u32 v6, vcc_lo, s4, v12
	v_mul_f32_e32 v14, 0.5, v7
	s_wait_alu 0xfffd
	v_add_co_ci_u32_e64 v7, null, s5, v13, vcc_lo
	v_lshlrev_b64_e32 v[8:9], 2, v[86:87]
	v_add_nc_u32_e32 v86, s24, v86
	v_dual_mul_f32 v12, 0.5, v0 :: v_dual_mul_f32 v13, 0.5, v1
	v_add_co_u32 v4, vcc_lo, s4, v4
	s_delay_alu instid0(VALU_DEP_3) | instskip(SKIP_4) | instid1(VALU_DEP_3)
	v_lshlrev_b64_e32 v[0:1], 2, v[86:87]
	v_add_nc_u32_e32 v86, s24, v86
	s_wait_alu 0xfffd
	v_add_co_ci_u32_e64 v5, null, s5, v5, vcc_lo
	v_add_co_u32 v8, vcc_lo, s4, v8
	v_lshlrev_b64_e32 v[10:11], 2, v[86:87]
	s_wait_alu 0xfffd
	v_add_co_ci_u32_e64 v9, null, s5, v9, vcc_lo
	v_add_co_u32 v0, vcc_lo, s4, v0
	v_mul_f32_e32 v15, 0.5, v2
	s_wait_alu 0xfffd
	v_add_co_ci_u32_e64 v1, null, s5, v1, vcc_lo
	v_add_co_u32 v2, vcc_lo, s4, v10
	v_mul_f32_e32 v16, 0.5, v3
	s_wait_alu 0xfffd
	v_add_co_ci_u32_e64 v3, null, s5, v11, vcc_lo
	s_clause 0x4
	global_store_b32 v[6:7], v14, off
	global_store_b32 v[4:5], v12, off
	;; [unrolled: 1-line block ×5, first 2 shown]
.LBB4_32:
	s_nop 0
	s_sendmsg sendmsg(MSG_DEALLOC_VGPRS)
	s_endpgm
	.section	.rodata,"a",@progbits
	.p2align	6, 0x0
	.amdhsa_kernel _ZL11fasten_mainILm16EEviiPK4AtomS2_PKfS4_S4_S4_S4_S4_PfPK8FFParamsi
		.amdhsa_group_segment_fixed_size 0
		.amdhsa_private_segment_fixed_size 1168
		.amdhsa_kernarg_size 352
		.amdhsa_user_sgpr_count 2
		.amdhsa_user_sgpr_dispatch_ptr 0
		.amdhsa_user_sgpr_queue_ptr 0
		.amdhsa_user_sgpr_kernarg_segment_ptr 1
		.amdhsa_user_sgpr_dispatch_id 0
		.amdhsa_user_sgpr_private_segment_size 0
		.amdhsa_wavefront_size32 1
		.amdhsa_uses_dynamic_stack 0
		.amdhsa_enable_private_segment 1
		.amdhsa_system_sgpr_workgroup_id_x 1
		.amdhsa_system_sgpr_workgroup_id_y 0
		.amdhsa_system_sgpr_workgroup_id_z 0
		.amdhsa_system_sgpr_workgroup_info 0
		.amdhsa_system_vgpr_workitem_id 0
		.amdhsa_next_free_vgpr 192
		.amdhsa_next_free_sgpr 35
		.amdhsa_reserve_vcc 1
		.amdhsa_float_round_mode_32 0
		.amdhsa_float_round_mode_16_64 0
		.amdhsa_float_denorm_mode_32 3
		.amdhsa_float_denorm_mode_16_64 3
		.amdhsa_fp16_overflow 0
		.amdhsa_workgroup_processor_mode 1
		.amdhsa_memory_ordered 1
		.amdhsa_forward_progress 1
		.amdhsa_inst_pref_size 118
		.amdhsa_round_robin_scheduling 0
		.amdhsa_exception_fp_ieee_invalid_op 0
		.amdhsa_exception_fp_denorm_src 0
		.amdhsa_exception_fp_ieee_div_zero 0
		.amdhsa_exception_fp_ieee_overflow 0
		.amdhsa_exception_fp_ieee_underflow 0
		.amdhsa_exception_fp_ieee_inexact 0
		.amdhsa_exception_int_div_zero 0
	.end_amdhsa_kernel
	.section	.text._ZL11fasten_mainILm16EEviiPK4AtomS2_PKfS4_S4_S4_S4_S4_PfPK8FFParamsi,"axG",@progbits,_ZL11fasten_mainILm16EEviiPK4AtomS2_PKfS4_S4_S4_S4_S4_PfPK8FFParamsi,comdat
.Lfunc_end4:
	.size	_ZL11fasten_mainILm16EEviiPK4AtomS2_PKfS4_S4_S4_S4_S4_PfPK8FFParamsi, .Lfunc_end4-_ZL11fasten_mainILm16EEviiPK4AtomS2_PKfS4_S4_S4_S4_S4_PfPK8FFParamsi
                                        ; -- End function
	.set _ZL11fasten_mainILm16EEviiPK4AtomS2_PKfS4_S4_S4_S4_S4_PfPK8FFParamsi.num_vgpr, 192
	.set _ZL11fasten_mainILm16EEviiPK4AtomS2_PKfS4_S4_S4_S4_S4_PfPK8FFParamsi.num_agpr, 0
	.set _ZL11fasten_mainILm16EEviiPK4AtomS2_PKfS4_S4_S4_S4_S4_PfPK8FFParamsi.numbered_sgpr, 35
	.set _ZL11fasten_mainILm16EEviiPK4AtomS2_PKfS4_S4_S4_S4_S4_PfPK8FFParamsi.num_named_barrier, 0
	.set _ZL11fasten_mainILm16EEviiPK4AtomS2_PKfS4_S4_S4_S4_S4_PfPK8FFParamsi.private_seg_size, 1168
	.set _ZL11fasten_mainILm16EEviiPK4AtomS2_PKfS4_S4_S4_S4_S4_PfPK8FFParamsi.uses_vcc, 1
	.set _ZL11fasten_mainILm16EEviiPK4AtomS2_PKfS4_S4_S4_S4_S4_PfPK8FFParamsi.uses_flat_scratch, 1
	.set _ZL11fasten_mainILm16EEviiPK4AtomS2_PKfS4_S4_S4_S4_S4_PfPK8FFParamsi.has_dyn_sized_stack, 0
	.set _ZL11fasten_mainILm16EEviiPK4AtomS2_PKfS4_S4_S4_S4_S4_PfPK8FFParamsi.has_recursion, 0
	.set _ZL11fasten_mainILm16EEviiPK4AtomS2_PKfS4_S4_S4_S4_S4_PfPK8FFParamsi.has_indirect_call, 0
	.section	.AMDGPU.csdata,"",@progbits
; Kernel info:
; codeLenInByte = 15080
; TotalNumSgprs: 37
; NumVgprs: 192
; ScratchSize: 1168
; MemoryBound: 0
; FloatMode: 240
; IeeeMode: 1
; LDSByteSize: 0 bytes/workgroup (compile time only)
; SGPRBlocks: 0
; VGPRBlocks: 23
; NumSGPRsForWavesPerEU: 37
; NumVGPRsForWavesPerEU: 192
; Occupancy: 8
; WaveLimiterHint : 1
; COMPUTE_PGM_RSRC2:SCRATCH_EN: 1
; COMPUTE_PGM_RSRC2:USER_SGPR: 2
; COMPUTE_PGM_RSRC2:TRAP_HANDLER: 0
; COMPUTE_PGM_RSRC2:TGID_X_EN: 1
; COMPUTE_PGM_RSRC2:TGID_Y_EN: 0
; COMPUTE_PGM_RSRC2:TGID_Z_EN: 0
; COMPUTE_PGM_RSRC2:TIDIG_COMP_CNT: 0
	.section	.text._ZL11fasten_mainILm32EEviiPK4AtomS2_PKfS4_S4_S4_S4_S4_PfPK8FFParamsi,"axG",@progbits,_ZL11fasten_mainILm32EEviiPK4AtomS2_PKfS4_S4_S4_S4_S4_PfPK8FFParamsi,comdat
	.globl	_ZL11fasten_mainILm32EEviiPK4AtomS2_PKfS4_S4_S4_S4_S4_PfPK8FFParamsi ; -- Begin function _ZL11fasten_mainILm32EEviiPK4AtomS2_PKfS4_S4_S4_S4_S4_PfPK8FFParamsi
	.p2align	8
	.type	_ZL11fasten_mainILm32EEviiPK4AtomS2_PKfS4_S4_S4_S4_S4_PfPK8FFParamsi,@function
_ZL11fasten_mainILm32EEviiPK4AtomS2_PKfS4_S4_S4_S4_S4_PfPK8FFParamsi: ; @_ZL11fasten_mainILm32EEviiPK4AtomS2_PKfS4_S4_S4_S4_S4_PfPK8FFParamsi
; %bb.0:
	s_clause 0x2
	s_load_b32 s2, s[0:1], 0x6c
	s_load_b32 s3, s[0:1], 0x58
	s_load_b512 s[8:23], s[0:1], 0x8
	s_mov_b32 s5, 0
	s_mov_b32 s7, 0
	s_mov_b32 s25, 0x7fffff
	s_mov_b32 s26, 0xb94c1982
	s_mov_b32 s27, 0x37d75334
	v_mov_b32_e32 v3, 0
	s_wait_kmcnt 0x0
	s_and_b32 s24, s2, 0xffff
	s_sub_co_i32 s4, s3, 32
	s_mul_i32 s2, ttmp9, s24
	s_lshl_b32 s6, s24, 2
	v_lshl_add_u32 v1, s2, 5, v0
	s_delay_alu instid0(VALU_DEP_1) | instskip(SKIP_4) | instid1(VALU_DEP_1)
	v_cmp_gt_i32_e64 s2, s3, v1
	v_mov_b32_e32 v0, v1
	scratch_store_b64 off, v[0:1], off offset:2916 ; 8-byte Folded Spill
	s_wait_alu 0xf1ff
	v_cndmask_b32_e64 v0, s4, v1, s2
	v_ashrrev_i32_e32 v1, 31, v0
	s_delay_alu instid0(VALU_DEP_1)
	v_lshlrev_b64_e32 v[0:1], 2, v[0:1]
	s_branch .LBB5_2
.LBB5_1:                                ;   in Loop: Header=BB5_2 Depth=1
	s_wait_alu 0xfffe
	s_or_b32 exec_lo, exec_lo, s3
	v_add_co_u32 v20, vcc_lo, s18, v0
	s_wait_alu 0xfffd
	v_add_co_ci_u32_e64 v21, null, s19, v1, vcc_lo
	v_add_co_u32 v23, vcc_lo, s20, v0
	s_wait_alu 0xfffd
	v_add_co_ci_u32_e64 v24, null, s21, v1, vcc_lo
	;; [unrolled: 3-line block ×3, first 2 shown]
	global_load_b32 v20, v[20:21], off
	global_load_b32 v24, v[23:24], off
	;; [unrolled: 1-line block ×3, first 2 shown]
	v_dual_mul_f32 v34, v2, v2 :: v_dual_and_b32 v29, 1, v13
	v_dual_mul_f32 v30, v8, v8 :: v_dual_and_b32 v23, 1, v19
	v_dual_mul_f32 v32, v6, v6 :: v_dual_lshlrev_b32 v19, 30, v19
	v_mul_f32_e32 v25, v14, v14
	s_delay_alu instid0(VALU_DEP_4)
	v_fmaak_f32 v46, s26, v34, 0x3c0881c4
	v_dual_mul_f32 v21, v18, v18 :: v_dual_and_b32 v26, 1, v16
	v_lshlrev_b32_e32 v16, 30, v16
	v_mul_f32_e32 v27, v12, v12
	v_dual_fmaak_f32 v38, s26, v25, 0x3c0881c4 :: v_dual_and_b32 v33, 1, v7
	v_dual_fmaak_f32 v44, s26, v32, 0x3c0881c4 :: v_dual_and_b32 v35, 1, v22
	v_fmaak_f32 v46, v34, v46, 0xbe2aaa9d
	v_fmaak_f32 v45, s27, v32, 0xbab64f3b
	v_dual_fmaak_f32 v36, s26, v21, 0x3c0881c4 :: v_dual_and_b32 v31, 1, v10
	v_lshlrev_b32_e32 v10, 30, v10
	v_dual_fmaak_f32 v40, s26, v27, 0x3c0881c4 :: v_dual_lshlrev_b32 v13, 30, v13
	v_dual_fmaak_f32 v42, s26, v30, 0x3c0881c4 :: v_dual_lshlrev_b32 v7, 30, v7
	v_dual_fmaak_f32 v37, s27, v21, 0xbab64f3b :: v_dual_lshlrev_b32 v22, 30, v22
	v_fmaak_f32 v38, v25, v38, 0xbe2aaa9d
	v_fmaak_f32 v44, v32, v44, 0xbe2aaa9d
	v_dual_mul_f32 v46, v34, v46 :: v_dual_fmaak_f32 v45, v32, v45, 0x3d2aabf7
	s_delay_alu instid0(VALU_DEP_3) | instskip(NEXT) | instid1(VALU_DEP_3)
	v_dual_fmaak_f32 v39, s27, v25, 0xbab64f3b :: v_dual_mul_f32 v38, v25, v38
	v_dual_fmaak_f32 v43, s27, v30, 0xbab64f3b :: v_dual_mul_f32 v44, v32, v44
	v_fmaak_f32 v36, v21, v36, 0xbe2aaa9d
	s_delay_alu instid0(VALU_DEP_3)
	v_dual_fmaak_f32 v37, v21, v37, 0x3d2aabf7 :: v_dual_fmac_f32 v14, v14, v38
	v_fmaak_f32 v40, v27, v40, 0xbe2aaa9d
	v_fmaak_f32 v41, s27, v27, 0xbab64f3b
	;; [unrolled: 1-line block ×3, first 2 shown]
	v_dual_fmac_f32 v2, v2, v46 :: v_dual_fmaak_f32 v45, v32, v45, 0xbf000004
	v_dual_mul_f32 v36, v21, v36 :: v_dual_and_b32 v19, 0x80000000, v19
	s_delay_alu instid0(VALU_DEP_3)
	v_dual_mul_f32 v42, v30, v42 :: v_dual_and_b32 v13, 0x80000000, v13
	v_dual_fmaak_f32 v39, v25, v39, 0x3d2aabf7 :: v_dual_mul_f32 v40, v27, v40
	v_dual_fmaak_f32 v41, v27, v41, 0x3d2aabf7 :: v_dual_fmac_f32 v6, v6, v44
	v_fma_f32 v32, v32, v45, 1.0
	v_fmaak_f32 v37, v21, v37, 0xbf000004
	v_dual_fmac_f32 v18, v18, v36 :: v_dual_and_b32 v7, 0x80000000, v7
	v_dual_fmac_f32 v8, v8, v42 :: v_dual_fmaak_f32 v39, v25, v39, 0xbf000004
	s_delay_alu instid0(VALU_DEP_3)
	v_fma_f32 v21, v21, v37, 1.0
	v_cmp_eq_u32_e32 vcc_lo, 0, v23
	v_fmaak_f32 v43, v30, v43, 0x3d2aabf7
	v_fmaak_f32 v41, v27, v41, 0xbf000004
	v_fma_f32 v25, v25, v39, 1.0
	v_dual_fmaak_f32 v47, s27, v34, 0xbab64f3b :: v_dual_fmac_f32 v12, v12, v40
	s_wait_alu 0xfffd
	v_cndmask_b32_e32 v18, v21, v18, vcc_lo
	v_cmp_eq_u32_e32 vcc_lo, 0, v26
	v_fmaak_f32 v43, v30, v43, 0xbf000004
	v_fma_f32 v27, v27, v41, 1.0
	v_xor_b32_e32 v5, v5, v4
	v_cmp_class_f32_e64 s3, v4, 0x1f8
	s_wait_alu 0xfffd
	v_cndmask_b32_e64 v14, -v14, v25, vcc_lo
	v_cmp_eq_u32_e32 vcc_lo, 0, v29
	v_fmaak_f32 v47, v34, v47, 0x3d2aabf7
	v_fma_f32 v30, v30, v43, 1.0
	v_xor_b32_e32 v17, v17, v15
	v_xor_b32_e32 v11, v11, v9
	s_wait_alu 0xfffd
	v_cndmask_b32_e32 v12, v27, v12, vcc_lo
	v_cmp_eq_u32_e32 vcc_lo, 0, v31
	v_cmp_class_f32_e64 s4, v15, 0x1f8
	v_xor3_b32 v17, v17, v19, v18
	s_add_co_i32 s28, s5, 0x80
	s_add_co_i32 s5, s5, 48
	s_wait_alu 0xfffd
	v_cndmask_b32_e64 v8, -v8, v30, vcc_lo
	v_cmp_eq_u32_e32 vcc_lo, 0, v33
	scratch_store_b32 off, v3, s7
	s_add_co_i32 s7, s7, 4
	s_wait_alu 0xfffe
	s_cmp_lg_u32 s5, 0x600
	s_wait_alu 0xfffd
	v_cndmask_b32_e32 v6, v32, v6, vcc_lo
	v_cmp_eq_u32_e32 vcc_lo, 0, v35
	s_delay_alu instid0(VALU_DEP_2) | instskip(SKIP_2) | instid1(VALU_DEP_3)
	v_xor3_b32 v4, v5, v7, v6
	v_cndmask_b32_e64 v5, 0x7fc00000, v17, s4
	v_and_b32_e32 v22, 0x80000000, v22
	v_cndmask_b32_e64 v4, 0x7fc00000, v4, s3
	v_fmaak_f32 v47, v34, v47, 0xbf000004
	s_delay_alu instid0(VALU_DEP_1) | instskip(SKIP_1) | instid1(VALU_DEP_1)
	v_fma_f32 v34, v34, v47, 1.0
	s_wait_alu 0xfffd
	v_cndmask_b32_e64 v2, -v2, v34, vcc_lo
	v_cmp_class_f32_e64 vcc_lo, v9, 0x1f8
	v_xor3_b32 v9, v11, v13, v12
	s_delay_alu instid0(VALU_DEP_3) | instskip(SKIP_1) | instid1(VALU_DEP_2)
	v_xor_b32_e32 v2, v22, v2
	s_wait_alu 0xfffd
	v_cndmask_b32_e32 v7, 0x7fc00000, v9, vcc_lo
	v_and_b32_e32 v10, 0x80000000, v10
	s_delay_alu instid0(VALU_DEP_3) | instskip(NEXT) | instid1(VALU_DEP_3)
	v_cndmask_b32_e64 v2, 0x7fc00000, v2, s4
	v_dual_mul_f32 v9, v4, v7 :: v_dual_and_b32 v16, 0x80000000, v16
	s_delay_alu instid0(VALU_DEP_3) | instskip(SKIP_1) | instid1(VALU_DEP_4)
	v_xor_b32_e32 v8, v10, v8
	v_xor_b32_e32 v25, 0x80000000, v7
	v_mul_f32_e32 v12, v4, v2
	s_delay_alu instid0(VALU_DEP_4) | instskip(NEXT) | instid1(VALU_DEP_4)
	v_xor_b32_e32 v14, v16, v14
	v_cndmask_b32_e64 v8, 0x7fc00000, v8, s3
	s_delay_alu instid0(VALU_DEP_2) | instskip(SKIP_1) | instid1(VALU_DEP_3)
	v_cndmask_b32_e32 v6, 0x7fc00000, v14, vcc_lo
	v_add_co_u32 v0, vcc_lo, v0, s6
	v_mul_f32_e32 v10, v8, v7
	v_mul_f32_e32 v11, v8, v5
	v_mul_f32_e32 v22, v8, v2
	s_wait_alu 0xfffd
	v_add_co_ci_u32_e64 v1, null, 0, v1, vcc_lo
	v_mul_f32_e32 v19, v10, v2
	v_mul_f32_e32 v17, v6, v2
	v_fma_f32 v18, v9, v2, -v11
	v_mul_f32_e32 v21, v6, v5
	v_fmac_f32_e32 v22, v9, v5
	v_fmac_f32_e32 v19, v4, v5
	v_fma_f32 v23, v10, v5, -v12
	v_mul_f32_e32 v26, v4, v6
	v_mul_f32_e32 v27, v8, v6
	s_wait_loadcnt 0x2
	scratch_store_b128 off, v[17:20], s28
	s_wait_loadcnt 0x1
	scratch_store_b128 off, v[21:24], s28 offset:16
	s_wait_loadcnt 0x0
	scratch_store_b128 off, v[25:28], s28 offset:32
	s_cbranch_scc0 .LBB5_26
.LBB5_2:                                ; =>This Inner Loop Header: Depth=1
	s_delay_alu instid0(VALU_DEP_1) | instskip(SKIP_1) | instid1(VALU_DEP_2)
	v_add_co_u32 v4, vcc_lo, s12, v0
	s_wait_alu 0xfffd
	v_add_co_ci_u32_e64 v5, null, s13, v1, vcc_lo
                                        ; implicit-def: $vgpr7
                                        ; implicit-def: $vgpr6
	global_load_b32 v4, v[4:5], off
	s_wait_loadcnt 0x0
	v_and_b32_e32 v5, 0x7fffffff, v4
	v_cmp_ngt_f32_e64 s28, 0x48000000, |v4|
	s_delay_alu instid0(VALU_DEP_2) | instskip(SKIP_1) | instid1(VALU_DEP_2)
	v_lshrrev_b32_e32 v2, 23, v5
	v_and_or_b32 v9, v5, s25, 0x800000
	v_add_nc_u32_e32 v11, 0xffffff88, v2
	s_and_saveexec_b32 s3, s28
	s_wait_alu 0xfffe
	s_xor_b32 s29, exec_lo, s3
	s_cbranch_execz .LBB5_4
; %bb.3:                                ;   in Loop: Header=BB5_2 Depth=1
	v_mad_co_u64_u32 v[6:7], null, 0xfe5163ab, v9, 0
	v_cmp_lt_u32_e32 vcc_lo, 63, v11
	s_delay_alu instid0(VALU_DEP_2) | instskip(NEXT) | instid1(VALU_DEP_1)
	v_mov_b32_e32 v2, v7
	v_mad_co_u64_u32 v[7:8], null, 0x3c439041, v9, v[2:3]
	s_delay_alu instid0(VALU_DEP_1) | instskip(SKIP_2) | instid1(VALU_DEP_2)
	v_mov_b32_e32 v2, v8
	s_wait_alu 0xfffd
	v_cndmask_b32_e64 v8, 0, 0xffffffc0, vcc_lo
	v_mad_co_u64_u32 v[12:13], null, 0xdb629599, v9, v[2:3]
	s_delay_alu instid0(VALU_DEP_2) | instskip(NEXT) | instid1(VALU_DEP_1)
	v_add_nc_u32_e32 v8, v8, v11
	v_cmp_lt_u32_e64 s3, 31, v8
	s_delay_alu instid0(VALU_DEP_3) | instskip(NEXT) | instid1(VALU_DEP_4)
	v_mov_b32_e32 v2, v13
	v_cndmask_b32_e32 v6, v12, v6, vcc_lo
	s_wait_alu 0xf1ff
	s_delay_alu instid0(VALU_DEP_3) | instskip(NEXT) | instid1(VALU_DEP_3)
	v_cndmask_b32_e64 v10, 0, 0xffffffe0, s3
	v_mad_co_u64_u32 v[13:14], null, 0xf534ddc0, v9, v[2:3]
	s_delay_alu instid0(VALU_DEP_2) | instskip(NEXT) | instid1(VALU_DEP_2)
	v_add_nc_u32_e32 v8, v10, v8
	v_mov_b32_e32 v2, v14
	s_delay_alu instid0(VALU_DEP_2) | instskip(NEXT) | instid1(VALU_DEP_4)
	v_cmp_lt_u32_e64 s4, 31, v8
	v_cndmask_b32_e32 v7, v13, v7, vcc_lo
	s_delay_alu instid0(VALU_DEP_3) | instskip(NEXT) | instid1(VALU_DEP_2)
	v_mad_co_u64_u32 v[14:15], null, 0xfc2757d1, v9, v[2:3]
	v_cndmask_b32_e64 v6, v7, v6, s3
	s_delay_alu instid0(VALU_DEP_2) | instskip(NEXT) | instid1(VALU_DEP_1)
	v_mov_b32_e32 v2, v15
	v_mad_co_u64_u32 v[15:16], null, 0x4e441529, v9, v[2:3]
	s_delay_alu instid0(VALU_DEP_1) | instskip(NEXT) | instid1(VALU_DEP_2)
	v_mov_b32_e32 v2, v16
	v_cndmask_b32_e32 v10, v15, v13, vcc_lo
	s_delay_alu instid0(VALU_DEP_2) | instskip(SKIP_2) | instid1(VALU_DEP_1)
	v_mad_co_u64_u32 v[16:17], null, 0xa2f9836e, v9, v[2:3]
	s_wait_alu 0xf1ff
	v_cndmask_b32_e64 v2, 0, 0xffffffe0, s4
	v_add_nc_u32_e32 v2, v2, v8
	s_delay_alu instid0(VALU_DEP_3) | instskip(SKIP_1) | instid1(VALU_DEP_3)
	v_dual_cndmask_b32 v16, v16, v14 :: v_dual_cndmask_b32 v15, v17, v15
	v_cndmask_b32_e32 v14, v14, v12, vcc_lo
	v_cmp_eq_u32_e32 vcc_lo, 0, v2
	s_delay_alu instid0(VALU_DEP_3) | instskip(NEXT) | instid1(VALU_DEP_4)
	v_cndmask_b32_e64 v8, v16, v10, s3
	v_cndmask_b32_e64 v13, v15, v16, s3
	s_delay_alu instid0(VALU_DEP_4) | instskip(SKIP_2) | instid1(VALU_DEP_4)
	v_cndmask_b32_e64 v10, v10, v14, s3
	v_sub_nc_u32_e32 v15, 32, v2
	v_cndmask_b32_e64 v14, v14, v7, s3
	v_cndmask_b32_e64 v13, v13, v8, s4
	s_delay_alu instid0(VALU_DEP_4) | instskip(NEXT) | instid1(VALU_DEP_3)
	v_cndmask_b32_e64 v8, v8, v10, s4
	v_cndmask_b32_e64 v10, v10, v14, s4
	v_cndmask_b32_e64 v6, v14, v6, s4
	s_delay_alu instid0(VALU_DEP_3) | instskip(NEXT) | instid1(VALU_DEP_3)
	v_alignbit_b32 v16, v13, v8, v15
	v_alignbit_b32 v12, v8, v10, v15
	s_delay_alu instid0(VALU_DEP_3) | instskip(SKIP_1) | instid1(VALU_DEP_3)
	v_alignbit_b32 v14, v10, v6, v15
	s_wait_alu 0xfffd
	v_cndmask_b32_e32 v2, v16, v13, vcc_lo
	s_delay_alu instid0(VALU_DEP_2) | instskip(NEXT) | instid1(VALU_DEP_2)
	v_dual_cndmask_b32 v7, v12, v8 :: v_dual_cndmask_b32 v10, v14, v10
	v_bfe_u32 v8, v2, 29, 1
	s_delay_alu instid0(VALU_DEP_2) | instskip(NEXT) | instid1(VALU_DEP_3)
	v_alignbit_b32 v12, v2, v7, 30
	v_alignbit_b32 v7, v7, v10, 30
	;; [unrolled: 1-line block ×3, first 2 shown]
	s_delay_alu instid0(VALU_DEP_4) | instskip(NEXT) | instid1(VALU_DEP_1)
	v_sub_nc_u32_e32 v13, 0, v8
	v_xor_b32_e32 v12, v12, v13
	s_delay_alu instid0(VALU_DEP_4) | instskip(NEXT) | instid1(VALU_DEP_4)
	v_xor_b32_e32 v7, v7, v13
	v_xor_b32_e32 v6, v6, v13
	v_lshrrev_b32_e32 v13, 29, v2
	v_lshrrev_b32_e32 v2, 30, v2
	v_clz_i32_u32_e32 v14, v12
	s_delay_alu instid0(VALU_DEP_1) | instskip(NEXT) | instid1(VALU_DEP_1)
	v_min_u32_e32 v14, 32, v14
	v_sub_nc_u32_e32 v10, 31, v14
	v_lshlrev_b32_e32 v15, 23, v14
	s_delay_alu instid0(VALU_DEP_2) | instskip(SKIP_2) | instid1(VALU_DEP_2)
	v_alignbit_b32 v12, v12, v7, v10
	v_alignbit_b32 v6, v7, v6, v10
	v_lshlrev_b32_e32 v7, 31, v13
	v_alignbit_b32 v10, v12, v6, 9
	s_delay_alu instid0(VALU_DEP_2) | instskip(SKIP_2) | instid1(VALU_DEP_4)
	v_or_b32_e32 v13, 0.5, v7
	v_lshrrev_b32_e32 v12, 9, v12
	v_or_b32_e32 v7, 0x33000000, v7
	v_clz_i32_u32_e32 v16, v10
	s_delay_alu instid0(VALU_DEP_4) | instskip(NEXT) | instid1(VALU_DEP_2)
	v_sub_nc_u32_e32 v13, v13, v15
	v_min_u32_e32 v15, 32, v16
	s_delay_alu instid0(VALU_DEP_2) | instskip(NEXT) | instid1(VALU_DEP_2)
	v_or_b32_e32 v12, v12, v13
	v_not_b32_e32 v13, v15
	s_delay_alu instid0(VALU_DEP_2) | instskip(SKIP_1) | instid1(VALU_DEP_3)
	v_mul_f32_e32 v16, 0x3fc90fda, v12
	v_add_lshl_u32 v14, v15, v14, 23
	v_alignbit_b32 v6, v10, v6, v13
	s_delay_alu instid0(VALU_DEP_3) | instskip(NEXT) | instid1(VALU_DEP_3)
	v_fma_f32 v10, 0x3fc90fda, v12, -v16
	v_sub_nc_u32_e32 v7, v7, v14
	s_delay_alu instid0(VALU_DEP_3) | instskip(NEXT) | instid1(VALU_DEP_3)
	v_lshrrev_b32_e32 v6, 9, v6
	v_fmac_f32_e32 v10, 0x33a22168, v12
	s_delay_alu instid0(VALU_DEP_2) | instskip(SKIP_1) | instid1(VALU_DEP_2)
	v_or_b32_e32 v6, v7, v6
	v_add_nc_u32_e32 v7, v8, v2
	v_fmac_f32_e32 v10, 0x3fc90fda, v6
	s_delay_alu instid0(VALU_DEP_1)
	v_add_f32_e32 v6, v16, v10
.LBB5_4:                                ;   in Loop: Header=BB5_2 Depth=1
	s_or_saveexec_b32 s3, s29
	v_mul_f32_e64 v2, 0x3f22f983, |v4|
	s_delay_alu instid0(VALU_DEP_1)
	v_rndne_f32_e32 v2, v2
	s_wait_alu 0xfffe
	s_xor_b32 exec_lo, exec_lo, s3
; %bb.5:                                ;   in Loop: Header=BB5_2 Depth=1
	s_delay_alu instid0(VALU_DEP_1) | instskip(SKIP_1) | instid1(VALU_DEP_2)
	v_fma_f32 v6, 0xbfc90fda, v2, |v4|
	v_cvt_i32_f32_e32 v7, v2
	v_fmac_f32_e32 v6, 0xb3a22168, v2
	s_delay_alu instid0(VALU_DEP_1)
	v_fmac_f32_e32 v6, 0xa7c234c4, v2
; %bb.6:                                ;   in Loop: Header=BB5_2 Depth=1
	s_or_b32 exec_lo, exec_lo, s3
                                        ; implicit-def: $vgpr10
                                        ; implicit-def: $vgpr8
	s_and_saveexec_b32 s3, s28
	s_wait_alu 0xfffe
	s_xor_b32 s28, exec_lo, s3
	s_cbranch_execz .LBB5_8
; %bb.7:                                ;   in Loop: Header=BB5_2 Depth=1
	v_mad_co_u64_u32 v[12:13], null, 0xfe5163ab, v9, 0
	v_cmp_lt_u32_e32 vcc_lo, 63, v11
	s_wait_alu 0xfffd
	v_cndmask_b32_e64 v8, 0, 0xffffffc0, vcc_lo
	s_delay_alu instid0(VALU_DEP_3) | instskip(NEXT) | instid1(VALU_DEP_2)
	v_mov_b32_e32 v2, v13
	v_add_nc_u32_e32 v8, v8, v11
	s_delay_alu instid0(VALU_DEP_2) | instskip(NEXT) | instid1(VALU_DEP_2)
	v_mad_co_u64_u32 v[13:14], null, 0x3c439041, v9, v[2:3]
	v_cmp_lt_u32_e64 s3, 31, v8
	s_delay_alu instid0(VALU_DEP_2) | instskip(NEXT) | instid1(VALU_DEP_1)
	v_mov_b32_e32 v2, v14
	v_mad_co_u64_u32 v[14:15], null, 0xdb629599, v9, v[2:3]
	s_delay_alu instid0(VALU_DEP_1) | instskip(NEXT) | instid1(VALU_DEP_2)
	v_mov_b32_e32 v2, v15
	v_cndmask_b32_e32 v12, v14, v12, vcc_lo
	s_delay_alu instid0(VALU_DEP_2) | instskip(NEXT) | instid1(VALU_DEP_1)
	v_mad_co_u64_u32 v[15:16], null, 0xf534ddc0, v9, v[2:3]
	v_mov_b32_e32 v2, v16
	s_delay_alu instid0(VALU_DEP_1) | instskip(NEXT) | instid1(VALU_DEP_1)
	v_mad_co_u64_u32 v[16:17], null, 0xfc2757d1, v9, v[2:3]
	v_mov_b32_e32 v2, v17
	s_wait_alu 0xf1ff
	v_cndmask_b32_e64 v17, 0, 0xffffffe0, s3
	s_delay_alu instid0(VALU_DEP_2) | instskip(NEXT) | instid1(VALU_DEP_1)
	v_mad_co_u64_u32 v[10:11], null, 0x4e441529, v9, v[2:3]
	v_dual_mov_b32 v2, v11 :: v_dual_add_nc_u32 v11, v17, v8
	s_delay_alu instid0(VALU_DEP_2) | instskip(NEXT) | instid1(VALU_DEP_2)
	v_cndmask_b32_e32 v17, v10, v15, vcc_lo
	v_mad_co_u64_u32 v[8:9], null, 0xa2f9836e, v9, v[2:3]
	s_delay_alu instid0(VALU_DEP_3) | instskip(SKIP_1) | instid1(VALU_DEP_1)
	v_cmp_lt_u32_e64 s4, 31, v11
	s_wait_alu 0xf1ff
	v_cndmask_b32_e64 v2, 0, 0xffffffe0, s4
	s_delay_alu instid0(VALU_DEP_3) | instskip(SKIP_1) | instid1(VALU_DEP_3)
	v_dual_cndmask_b32 v8, v8, v16 :: v_dual_cndmask_b32 v9, v9, v10
	v_cndmask_b32_e32 v10, v16, v14, vcc_lo
	v_dual_cndmask_b32 v11, v15, v13 :: v_dual_add_nc_u32 v2, v2, v11
	s_delay_alu instid0(VALU_DEP_3) | instskip(NEXT) | instid1(VALU_DEP_4)
	v_cndmask_b32_e64 v13, v8, v17, s3
	v_cndmask_b32_e64 v8, v9, v8, s3
	s_delay_alu instid0(VALU_DEP_4) | instskip(NEXT) | instid1(VALU_DEP_4)
	v_cndmask_b32_e64 v9, v17, v10, s3
	v_sub_nc_u32_e32 v15, 32, v2
	v_cndmask_b32_e64 v10, v10, v11, s3
	v_cmp_eq_u32_e32 vcc_lo, 0, v2
	v_cndmask_b32_e64 v8, v8, v13, s4
	v_cndmask_b32_e64 v13, v13, v9, s4
	s_delay_alu instid0(VALU_DEP_4) | instskip(NEXT) | instid1(VALU_DEP_2)
	v_cndmask_b32_e64 v9, v9, v10, s4
	v_alignbit_b32 v16, v8, v13, v15
	s_delay_alu instid0(VALU_DEP_2) | instskip(SKIP_1) | instid1(VALU_DEP_2)
	v_alignbit_b32 v14, v13, v9, v15
	s_wait_alu 0xfffd
	v_cndmask_b32_e32 v2, v16, v8, vcc_lo
	v_cndmask_b32_e64 v8, v11, v12, s3
	s_delay_alu instid0(VALU_DEP_3) | instskip(NEXT) | instid1(VALU_DEP_3)
	v_cndmask_b32_e32 v11, v14, v13, vcc_lo
	v_bfe_u32 v12, v2, 29, 1
	s_delay_alu instid0(VALU_DEP_3) | instskip(NEXT) | instid1(VALU_DEP_3)
	v_cndmask_b32_e64 v8, v10, v8, s4
	v_alignbit_b32 v10, v2, v11, 30
	s_delay_alu instid0(VALU_DEP_3) | instskip(NEXT) | instid1(VALU_DEP_3)
	v_sub_nc_u32_e32 v13, 0, v12
	v_alignbit_b32 v14, v9, v8, v15
	s_delay_alu instid0(VALU_DEP_2) | instskip(NEXT) | instid1(VALU_DEP_2)
	v_xor_b32_e32 v10, v10, v13
	v_cndmask_b32_e32 v9, v14, v9, vcc_lo
	s_delay_alu instid0(VALU_DEP_2) | instskip(NEXT) | instid1(VALU_DEP_2)
	v_clz_i32_u32_e32 v14, v10
	v_alignbit_b32 v11, v11, v9, 30
	v_alignbit_b32 v8, v9, v8, 30
	s_delay_alu instid0(VALU_DEP_3) | instskip(NEXT) | instid1(VALU_DEP_3)
	v_min_u32_e32 v14, 32, v14
	v_xor_b32_e32 v9, v11, v13
	s_delay_alu instid0(VALU_DEP_3) | instskip(SKIP_4) | instid1(VALU_DEP_2)
	v_xor_b32_e32 v8, v8, v13
	v_lshrrev_b32_e32 v13, 29, v2
	v_lshrrev_b32_e32 v2, 30, v2
	v_sub_nc_u32_e32 v11, 31, v14
	v_lshlrev_b32_e32 v15, 23, v14
	v_alignbit_b32 v10, v10, v9, v11
	v_alignbit_b32 v8, v9, v8, v11
	v_lshlrev_b32_e32 v9, 31, v13
	s_delay_alu instid0(VALU_DEP_2) | instskip(NEXT) | instid1(VALU_DEP_2)
	v_alignbit_b32 v11, v10, v8, 9
	v_or_b32_e32 v13, 0.5, v9
	v_lshrrev_b32_e32 v10, 9, v10
	v_or_b32_e32 v9, 0x33000000, v9
	s_delay_alu instid0(VALU_DEP_4) | instskip(NEXT) | instid1(VALU_DEP_4)
	v_clz_i32_u32_e32 v16, v11
	v_sub_nc_u32_e32 v13, v13, v15
	s_delay_alu instid0(VALU_DEP_2) | instskip(NEXT) | instid1(VALU_DEP_2)
	v_min_u32_e32 v15, 32, v16
	v_or_b32_e32 v10, v10, v13
	s_delay_alu instid0(VALU_DEP_2) | instskip(NEXT) | instid1(VALU_DEP_2)
	v_not_b32_e32 v13, v15
	v_mul_f32_e32 v16, 0x3fc90fda, v10
	v_add_lshl_u32 v14, v15, v14, 23
	s_delay_alu instid0(VALU_DEP_3) | instskip(NEXT) | instid1(VALU_DEP_3)
	v_alignbit_b32 v8, v11, v8, v13
	v_fma_f32 v11, 0x3fc90fda, v10, -v16
	s_delay_alu instid0(VALU_DEP_3) | instskip(NEXT) | instid1(VALU_DEP_3)
	v_sub_nc_u32_e32 v9, v9, v14
	v_lshrrev_b32_e32 v8, 9, v8
	s_delay_alu instid0(VALU_DEP_3) | instskip(SKIP_1) | instid1(VALU_DEP_3)
	v_fmac_f32_e32 v11, 0x33a22168, v10
	v_add_nc_u32_e32 v10, v12, v2
                                        ; implicit-def: $vgpr2
	v_or_b32_e32 v8, v9, v8
	s_delay_alu instid0(VALU_DEP_1) | instskip(NEXT) | instid1(VALU_DEP_1)
	v_fmac_f32_e32 v11, 0x3fc90fda, v8
	v_add_f32_e32 v8, v16, v11
	s_and_not1_saveexec_b32 s3, s28
	s_cbranch_execnz .LBB5_9
	s_branch .LBB5_10
.LBB5_8:                                ;   in Loop: Header=BB5_2 Depth=1
	s_and_not1_saveexec_b32 s3, s28
.LBB5_9:                                ;   in Loop: Header=BB5_2 Depth=1
	v_fma_f32 v8, 0xbfc90fda, v2, |v4|
	v_cvt_i32_f32_e32 v10, v2
	s_delay_alu instid0(VALU_DEP_2) | instskip(NEXT) | instid1(VALU_DEP_1)
	v_fmac_f32_e32 v8, 0xb3a22168, v2
	v_fmac_f32_e32 v8, 0xa7c234c4, v2
.LBB5_10:                               ;   in Loop: Header=BB5_2 Depth=1
	s_wait_alu 0xfffe
	s_or_b32 exec_lo, exec_lo, s3
	v_add_co_u32 v11, vcc_lo, s14, v0
	s_wait_alu 0xfffd
	v_add_co_ci_u32_e64 v12, null, s15, v1, vcc_lo
                                        ; implicit-def: $vgpr13
	global_load_b32 v9, v[11:12], off
                                        ; implicit-def: $vgpr12
	s_wait_loadcnt 0x0
	v_and_b32_e32 v11, 0x7fffffff, v9
	v_cmp_ngt_f32_e64 s28, 0x48000000, |v9|
	s_delay_alu instid0(VALU_DEP_2) | instskip(SKIP_1) | instid1(VALU_DEP_2)
	v_lshrrev_b32_e32 v2, 23, v11
	v_and_or_b32 v15, v11, s25, 0x800000
	v_add_nc_u32_e32 v17, 0xffffff88, v2
	s_and_saveexec_b32 s3, s28
	s_wait_alu 0xfffe
	s_xor_b32 s29, exec_lo, s3
	s_cbranch_execz .LBB5_12
; %bb.11:                               ;   in Loop: Header=BB5_2 Depth=1
	v_mad_co_u64_u32 v[12:13], null, 0xfe5163ab, v15, 0
	v_cmp_lt_u32_e32 vcc_lo, 63, v17
	s_delay_alu instid0(VALU_DEP_2) | instskip(NEXT) | instid1(VALU_DEP_1)
	v_mov_b32_e32 v2, v13
	v_mad_co_u64_u32 v[13:14], null, 0x3c439041, v15, v[2:3]
	s_delay_alu instid0(VALU_DEP_1) | instskip(SKIP_2) | instid1(VALU_DEP_2)
	v_mov_b32_e32 v2, v14
	s_wait_alu 0xfffd
	v_cndmask_b32_e64 v14, 0, 0xffffffc0, vcc_lo
	v_mad_co_u64_u32 v[18:19], null, 0xdb629599, v15, v[2:3]
	s_delay_alu instid0(VALU_DEP_2) | instskip(NEXT) | instid1(VALU_DEP_1)
	v_add_nc_u32_e32 v14, v14, v17
	v_cmp_lt_u32_e64 s3, 31, v14
	s_delay_alu instid0(VALU_DEP_3) | instskip(NEXT) | instid1(VALU_DEP_4)
	v_mov_b32_e32 v2, v19
	v_cndmask_b32_e32 v12, v18, v12, vcc_lo
	s_wait_alu 0xf1ff
	s_delay_alu instid0(VALU_DEP_3) | instskip(NEXT) | instid1(VALU_DEP_3)
	v_cndmask_b32_e64 v16, 0, 0xffffffe0, s3
	v_mad_co_u64_u32 v[19:20], null, 0xf534ddc0, v15, v[2:3]
	s_delay_alu instid0(VALU_DEP_2) | instskip(NEXT) | instid1(VALU_DEP_2)
	v_add_nc_u32_e32 v14, v16, v14
	v_mov_b32_e32 v2, v20
	s_delay_alu instid0(VALU_DEP_2) | instskip(NEXT) | instid1(VALU_DEP_4)
	v_cmp_lt_u32_e64 s4, 31, v14
	v_cndmask_b32_e32 v13, v19, v13, vcc_lo
	s_delay_alu instid0(VALU_DEP_3) | instskip(NEXT) | instid1(VALU_DEP_2)
	v_mad_co_u64_u32 v[20:21], null, 0xfc2757d1, v15, v[2:3]
	v_cndmask_b32_e64 v12, v13, v12, s3
	s_delay_alu instid0(VALU_DEP_2) | instskip(NEXT) | instid1(VALU_DEP_1)
	v_mov_b32_e32 v2, v21
	v_mad_co_u64_u32 v[21:22], null, 0x4e441529, v15, v[2:3]
	s_delay_alu instid0(VALU_DEP_1) | instskip(NEXT) | instid1(VALU_DEP_2)
	v_mov_b32_e32 v2, v22
	v_cndmask_b32_e32 v16, v21, v19, vcc_lo
	s_delay_alu instid0(VALU_DEP_2) | instskip(SKIP_2) | instid1(VALU_DEP_1)
	v_mad_co_u64_u32 v[22:23], null, 0xa2f9836e, v15, v[2:3]
	s_wait_alu 0xf1ff
	v_cndmask_b32_e64 v2, 0, 0xffffffe0, s4
	v_add_nc_u32_e32 v2, v2, v14
	s_delay_alu instid0(VALU_DEP_3) | instskip(SKIP_1) | instid1(VALU_DEP_3)
	v_dual_cndmask_b32 v22, v22, v20 :: v_dual_cndmask_b32 v21, v23, v21
	v_cndmask_b32_e32 v20, v20, v18, vcc_lo
	v_cmp_eq_u32_e32 vcc_lo, 0, v2
	s_delay_alu instid0(VALU_DEP_3) | instskip(NEXT) | instid1(VALU_DEP_4)
	v_cndmask_b32_e64 v14, v22, v16, s3
	v_cndmask_b32_e64 v19, v21, v22, s3
	s_delay_alu instid0(VALU_DEP_4) | instskip(SKIP_2) | instid1(VALU_DEP_4)
	v_cndmask_b32_e64 v16, v16, v20, s3
	v_sub_nc_u32_e32 v21, 32, v2
	v_cndmask_b32_e64 v20, v20, v13, s3
	v_cndmask_b32_e64 v19, v19, v14, s4
	s_delay_alu instid0(VALU_DEP_4) | instskip(NEXT) | instid1(VALU_DEP_3)
	v_cndmask_b32_e64 v14, v14, v16, s4
	v_cndmask_b32_e64 v16, v16, v20, s4
	;; [unrolled: 1-line block ×3, first 2 shown]
	s_delay_alu instid0(VALU_DEP_3) | instskip(NEXT) | instid1(VALU_DEP_3)
	v_alignbit_b32 v22, v19, v14, v21
	v_alignbit_b32 v18, v14, v16, v21
	s_delay_alu instid0(VALU_DEP_3) | instskip(SKIP_1) | instid1(VALU_DEP_3)
	v_alignbit_b32 v20, v16, v12, v21
	s_wait_alu 0xfffd
	v_cndmask_b32_e32 v2, v22, v19, vcc_lo
	s_delay_alu instid0(VALU_DEP_2) | instskip(NEXT) | instid1(VALU_DEP_2)
	v_dual_cndmask_b32 v13, v18, v14 :: v_dual_cndmask_b32 v16, v20, v16
	v_bfe_u32 v14, v2, 29, 1
	s_delay_alu instid0(VALU_DEP_2) | instskip(NEXT) | instid1(VALU_DEP_3)
	v_alignbit_b32 v18, v2, v13, 30
	v_alignbit_b32 v13, v13, v16, 30
	;; [unrolled: 1-line block ×3, first 2 shown]
	s_delay_alu instid0(VALU_DEP_4) | instskip(NEXT) | instid1(VALU_DEP_1)
	v_sub_nc_u32_e32 v19, 0, v14
	v_xor_b32_e32 v18, v18, v19
	s_delay_alu instid0(VALU_DEP_4) | instskip(NEXT) | instid1(VALU_DEP_4)
	v_xor_b32_e32 v13, v13, v19
	v_xor_b32_e32 v12, v12, v19
	v_lshrrev_b32_e32 v19, 29, v2
	v_lshrrev_b32_e32 v2, 30, v2
	v_clz_i32_u32_e32 v20, v18
	s_delay_alu instid0(VALU_DEP_1) | instskip(NEXT) | instid1(VALU_DEP_1)
	v_min_u32_e32 v20, 32, v20
	v_sub_nc_u32_e32 v16, 31, v20
	v_lshlrev_b32_e32 v21, 23, v20
	s_delay_alu instid0(VALU_DEP_2) | instskip(SKIP_2) | instid1(VALU_DEP_2)
	v_alignbit_b32 v18, v18, v13, v16
	v_alignbit_b32 v12, v13, v12, v16
	v_lshlrev_b32_e32 v13, 31, v19
	v_alignbit_b32 v16, v18, v12, 9
	s_delay_alu instid0(VALU_DEP_2) | instskip(SKIP_2) | instid1(VALU_DEP_4)
	v_or_b32_e32 v19, 0.5, v13
	v_lshrrev_b32_e32 v18, 9, v18
	v_or_b32_e32 v13, 0x33000000, v13
	v_clz_i32_u32_e32 v22, v16
	s_delay_alu instid0(VALU_DEP_4) | instskip(NEXT) | instid1(VALU_DEP_2)
	v_sub_nc_u32_e32 v19, v19, v21
	v_min_u32_e32 v21, 32, v22
	s_delay_alu instid0(VALU_DEP_2) | instskip(NEXT) | instid1(VALU_DEP_2)
	v_or_b32_e32 v18, v18, v19
	v_not_b32_e32 v19, v21
	s_delay_alu instid0(VALU_DEP_2) | instskip(SKIP_1) | instid1(VALU_DEP_3)
	v_mul_f32_e32 v22, 0x3fc90fda, v18
	v_add_lshl_u32 v20, v21, v20, 23
	v_alignbit_b32 v12, v16, v12, v19
	s_delay_alu instid0(VALU_DEP_3) | instskip(NEXT) | instid1(VALU_DEP_3)
	v_fma_f32 v16, 0x3fc90fda, v18, -v22
	v_sub_nc_u32_e32 v13, v13, v20
	s_delay_alu instid0(VALU_DEP_3) | instskip(NEXT) | instid1(VALU_DEP_3)
	v_lshrrev_b32_e32 v12, 9, v12
	v_fmac_f32_e32 v16, 0x33a22168, v18
	s_delay_alu instid0(VALU_DEP_2) | instskip(NEXT) | instid1(VALU_DEP_1)
	v_or_b32_e32 v12, v13, v12
	v_dual_fmac_f32 v16, 0x3fc90fda, v12 :: v_dual_add_nc_u32 v13, v14, v2
	s_delay_alu instid0(VALU_DEP_1)
	v_add_f32_e32 v12, v22, v16
.LBB5_12:                               ;   in Loop: Header=BB5_2 Depth=1
	s_or_saveexec_b32 s3, s29
	v_mul_f32_e64 v2, 0x3f22f983, |v9|
	s_delay_alu instid0(VALU_DEP_1)
	v_rndne_f32_e32 v2, v2
	s_wait_alu 0xfffe
	s_xor_b32 exec_lo, exec_lo, s3
; %bb.13:                               ;   in Loop: Header=BB5_2 Depth=1
	s_delay_alu instid0(VALU_DEP_1) | instskip(SKIP_1) | instid1(VALU_DEP_2)
	v_fma_f32 v12, 0xbfc90fda, v2, |v9|
	v_cvt_i32_f32_e32 v13, v2
	v_fmac_f32_e32 v12, 0xb3a22168, v2
	s_delay_alu instid0(VALU_DEP_1)
	v_fmac_f32_e32 v12, 0xa7c234c4, v2
; %bb.14:                               ;   in Loop: Header=BB5_2 Depth=1
	s_or_b32 exec_lo, exec_lo, s3
                                        ; implicit-def: $vgpr16
                                        ; implicit-def: $vgpr14
	s_and_saveexec_b32 s3, s28
	s_wait_alu 0xfffe
	s_xor_b32 s28, exec_lo, s3
	s_cbranch_execz .LBB5_16
; %bb.15:                               ;   in Loop: Header=BB5_2 Depth=1
	v_mad_co_u64_u32 v[18:19], null, 0xfe5163ab, v15, 0
	v_cmp_lt_u32_e32 vcc_lo, 63, v17
	s_wait_alu 0xfffd
	v_cndmask_b32_e64 v14, 0, 0xffffffc0, vcc_lo
	s_delay_alu instid0(VALU_DEP_3) | instskip(NEXT) | instid1(VALU_DEP_2)
	v_mov_b32_e32 v2, v19
	v_add_nc_u32_e32 v14, v14, v17
	s_delay_alu instid0(VALU_DEP_2) | instskip(NEXT) | instid1(VALU_DEP_2)
	v_mad_co_u64_u32 v[19:20], null, 0x3c439041, v15, v[2:3]
	v_cmp_lt_u32_e64 s3, 31, v14
	s_delay_alu instid0(VALU_DEP_2) | instskip(NEXT) | instid1(VALU_DEP_1)
	v_mov_b32_e32 v2, v20
	v_mad_co_u64_u32 v[20:21], null, 0xdb629599, v15, v[2:3]
	s_delay_alu instid0(VALU_DEP_1) | instskip(NEXT) | instid1(VALU_DEP_2)
	v_mov_b32_e32 v2, v21
	v_cndmask_b32_e32 v18, v20, v18, vcc_lo
	s_delay_alu instid0(VALU_DEP_2) | instskip(NEXT) | instid1(VALU_DEP_1)
	v_mad_co_u64_u32 v[21:22], null, 0xf534ddc0, v15, v[2:3]
	v_mov_b32_e32 v2, v22
	s_delay_alu instid0(VALU_DEP_1) | instskip(NEXT) | instid1(VALU_DEP_1)
	v_mad_co_u64_u32 v[22:23], null, 0xfc2757d1, v15, v[2:3]
	v_mov_b32_e32 v2, v23
	s_wait_alu 0xf1ff
	v_cndmask_b32_e64 v23, 0, 0xffffffe0, s3
	s_delay_alu instid0(VALU_DEP_2) | instskip(NEXT) | instid1(VALU_DEP_1)
	v_mad_co_u64_u32 v[16:17], null, 0x4e441529, v15, v[2:3]
	v_dual_mov_b32 v2, v17 :: v_dual_add_nc_u32 v17, v23, v14
	s_delay_alu instid0(VALU_DEP_2) | instskip(NEXT) | instid1(VALU_DEP_2)
	v_cndmask_b32_e32 v23, v16, v21, vcc_lo
	v_mad_co_u64_u32 v[14:15], null, 0xa2f9836e, v15, v[2:3]
	s_delay_alu instid0(VALU_DEP_3) | instskip(SKIP_1) | instid1(VALU_DEP_1)
	v_cmp_lt_u32_e64 s4, 31, v17
	s_wait_alu 0xf1ff
	v_cndmask_b32_e64 v2, 0, 0xffffffe0, s4
	s_delay_alu instid0(VALU_DEP_3) | instskip(SKIP_1) | instid1(VALU_DEP_3)
	v_dual_cndmask_b32 v14, v14, v22 :: v_dual_cndmask_b32 v15, v15, v16
	v_cndmask_b32_e32 v16, v22, v20, vcc_lo
	v_dual_cndmask_b32 v17, v21, v19 :: v_dual_add_nc_u32 v2, v2, v17
	s_delay_alu instid0(VALU_DEP_3) | instskip(NEXT) | instid1(VALU_DEP_4)
	v_cndmask_b32_e64 v19, v14, v23, s3
	v_cndmask_b32_e64 v14, v15, v14, s3
	s_delay_alu instid0(VALU_DEP_4) | instskip(NEXT) | instid1(VALU_DEP_4)
	v_cndmask_b32_e64 v15, v23, v16, s3
	v_sub_nc_u32_e32 v21, 32, v2
	v_cndmask_b32_e64 v16, v16, v17, s3
	v_cmp_eq_u32_e32 vcc_lo, 0, v2
	v_cndmask_b32_e64 v14, v14, v19, s4
	v_cndmask_b32_e64 v19, v19, v15, s4
	s_delay_alu instid0(VALU_DEP_4) | instskip(NEXT) | instid1(VALU_DEP_2)
	v_cndmask_b32_e64 v15, v15, v16, s4
	v_alignbit_b32 v22, v14, v19, v21
	s_delay_alu instid0(VALU_DEP_2) | instskip(SKIP_1) | instid1(VALU_DEP_2)
	v_alignbit_b32 v20, v19, v15, v21
	s_wait_alu 0xfffd
	v_cndmask_b32_e32 v2, v22, v14, vcc_lo
	v_cndmask_b32_e64 v14, v17, v18, s3
	s_delay_alu instid0(VALU_DEP_3) | instskip(NEXT) | instid1(VALU_DEP_3)
	v_cndmask_b32_e32 v17, v20, v19, vcc_lo
	v_bfe_u32 v18, v2, 29, 1
	s_delay_alu instid0(VALU_DEP_3) | instskip(NEXT) | instid1(VALU_DEP_3)
	v_cndmask_b32_e64 v14, v16, v14, s4
	v_alignbit_b32 v16, v2, v17, 30
	s_delay_alu instid0(VALU_DEP_3) | instskip(NEXT) | instid1(VALU_DEP_3)
	v_sub_nc_u32_e32 v19, 0, v18
	v_alignbit_b32 v20, v15, v14, v21
	s_delay_alu instid0(VALU_DEP_2) | instskip(NEXT) | instid1(VALU_DEP_2)
	v_xor_b32_e32 v16, v16, v19
	v_cndmask_b32_e32 v15, v20, v15, vcc_lo
	s_delay_alu instid0(VALU_DEP_2) | instskip(NEXT) | instid1(VALU_DEP_2)
	v_clz_i32_u32_e32 v20, v16
	v_alignbit_b32 v17, v17, v15, 30
	v_alignbit_b32 v14, v15, v14, 30
	s_delay_alu instid0(VALU_DEP_3) | instskip(NEXT) | instid1(VALU_DEP_3)
	v_min_u32_e32 v20, 32, v20
	v_xor_b32_e32 v15, v17, v19
	s_delay_alu instid0(VALU_DEP_3) | instskip(SKIP_4) | instid1(VALU_DEP_2)
	v_xor_b32_e32 v14, v14, v19
	v_lshrrev_b32_e32 v19, 29, v2
	v_lshrrev_b32_e32 v2, 30, v2
	v_sub_nc_u32_e32 v17, 31, v20
	v_lshlrev_b32_e32 v21, 23, v20
	v_alignbit_b32 v16, v16, v15, v17
	v_alignbit_b32 v14, v15, v14, v17
	v_lshlrev_b32_e32 v15, 31, v19
	s_delay_alu instid0(VALU_DEP_2) | instskip(NEXT) | instid1(VALU_DEP_2)
	v_alignbit_b32 v17, v16, v14, 9
	v_or_b32_e32 v19, 0.5, v15
	v_lshrrev_b32_e32 v16, 9, v16
	v_or_b32_e32 v15, 0x33000000, v15
	s_delay_alu instid0(VALU_DEP_4) | instskip(NEXT) | instid1(VALU_DEP_4)
	v_clz_i32_u32_e32 v22, v17
	v_sub_nc_u32_e32 v19, v19, v21
	s_delay_alu instid0(VALU_DEP_2) | instskip(NEXT) | instid1(VALU_DEP_2)
	v_min_u32_e32 v21, 32, v22
	v_or_b32_e32 v16, v16, v19
	s_delay_alu instid0(VALU_DEP_2) | instskip(NEXT) | instid1(VALU_DEP_2)
	v_not_b32_e32 v19, v21
	v_mul_f32_e32 v22, 0x3fc90fda, v16
	v_add_lshl_u32 v20, v21, v20, 23
	s_delay_alu instid0(VALU_DEP_3) | instskip(NEXT) | instid1(VALU_DEP_3)
	v_alignbit_b32 v14, v17, v14, v19
	v_fma_f32 v17, 0x3fc90fda, v16, -v22
	s_delay_alu instid0(VALU_DEP_3) | instskip(NEXT) | instid1(VALU_DEP_3)
	v_sub_nc_u32_e32 v15, v15, v20
	v_lshrrev_b32_e32 v14, 9, v14
	s_delay_alu instid0(VALU_DEP_3) | instskip(NEXT) | instid1(VALU_DEP_2)
	v_dual_fmac_f32 v17, 0x33a22168, v16 :: v_dual_add_nc_u32 v16, v18, v2
                                        ; implicit-def: $vgpr2
	v_or_b32_e32 v14, v15, v14
	s_delay_alu instid0(VALU_DEP_1) | instskip(NEXT) | instid1(VALU_DEP_1)
	v_fmac_f32_e32 v17, 0x3fc90fda, v14
	v_add_f32_e32 v14, v22, v17
	s_and_not1_saveexec_b32 s3, s28
	s_cbranch_execnz .LBB5_17
	s_branch .LBB5_18
.LBB5_16:                               ;   in Loop: Header=BB5_2 Depth=1
	s_and_not1_saveexec_b32 s3, s28
.LBB5_17:                               ;   in Loop: Header=BB5_2 Depth=1
	v_fma_f32 v14, 0xbfc90fda, v2, |v9|
	v_cvt_i32_f32_e32 v16, v2
	s_delay_alu instid0(VALU_DEP_2) | instskip(NEXT) | instid1(VALU_DEP_1)
	v_fmac_f32_e32 v14, 0xb3a22168, v2
	v_fmac_f32_e32 v14, 0xa7c234c4, v2
.LBB5_18:                               ;   in Loop: Header=BB5_2 Depth=1
	s_wait_alu 0xfffe
	s_or_b32 exec_lo, exec_lo, s3
	v_add_co_u32 v17, vcc_lo, s16, v0
	s_wait_alu 0xfffd
	v_add_co_ci_u32_e64 v18, null, s17, v1, vcc_lo
                                        ; implicit-def: $vgpr19
	global_load_b32 v15, v[17:18], off
                                        ; implicit-def: $vgpr18
	s_wait_loadcnt 0x0
	v_and_b32_e32 v17, 0x7fffffff, v15
	v_cmp_ngt_f32_e64 s28, 0x48000000, |v15|
	s_delay_alu instid0(VALU_DEP_2) | instskip(SKIP_1) | instid1(VALU_DEP_2)
	v_lshrrev_b32_e32 v2, 23, v17
	v_and_or_b32 v20, v17, s25, 0x800000
	v_add_nc_u32_e32 v21, 0xffffff88, v2
	s_and_saveexec_b32 s3, s28
	s_wait_alu 0xfffe
	s_xor_b32 s29, exec_lo, s3
	s_cbranch_execz .LBB5_20
; %bb.19:                               ;   in Loop: Header=BB5_2 Depth=1
	v_mad_co_u64_u32 v[18:19], null, 0xfe5163ab, v20, 0
	v_cmp_lt_u32_e32 vcc_lo, 63, v21
	s_delay_alu instid0(VALU_DEP_2) | instskip(SKIP_2) | instid1(VALU_DEP_1)
	v_mov_b32_e32 v2, v19
	s_wait_alu 0xfffd
	v_cndmask_b32_e64 v19, 0, 0xffffffc0, vcc_lo
	v_add_nc_u32_e32 v19, v19, v21
	s_delay_alu instid0(VALU_DEP_1) | instskip(SKIP_1) | instid1(VALU_DEP_1)
	v_cmp_lt_u32_e64 s3, 31, v19
	s_wait_alu 0xf1ff
	v_cndmask_b32_e64 v28, 0, 0xffffffe0, s3
	s_delay_alu instid0(VALU_DEP_1) | instskip(SKIP_1) | instid1(VALU_DEP_2)
	v_add_nc_u32_e32 v19, v28, v19
	v_mad_co_u64_u32 v[22:23], null, 0x3c439041, v20, v[2:3]
	v_cmp_lt_u32_e64 s4, 31, v19
	s_delay_alu instid0(VALU_DEP_2) | instskip(NEXT) | instid1(VALU_DEP_1)
	v_mov_b32_e32 v2, v23
	v_mad_co_u64_u32 v[23:24], null, 0xdb629599, v20, v[2:3]
	s_delay_alu instid0(VALU_DEP_1) | instskip(NEXT) | instid1(VALU_DEP_2)
	v_mov_b32_e32 v2, v24
	v_cndmask_b32_e32 v18, v23, v18, vcc_lo
	s_delay_alu instid0(VALU_DEP_2) | instskip(NEXT) | instid1(VALU_DEP_1)
	v_mad_co_u64_u32 v[24:25], null, 0xf534ddc0, v20, v[2:3]
	v_mov_b32_e32 v2, v25
	s_delay_alu instid0(VALU_DEP_1) | instskip(NEXT) | instid1(VALU_DEP_1)
	v_mad_co_u64_u32 v[25:26], null, 0xfc2757d1, v20, v[2:3]
	v_mov_b32_e32 v2, v26
	s_delay_alu instid0(VALU_DEP_1) | instskip(NEXT) | instid1(VALU_DEP_1)
	v_mad_co_u64_u32 v[26:27], null, 0x4e441529, v20, v[2:3]
	v_dual_mov_b32 v2, v27 :: v_dual_cndmask_b32 v29, v26, v24
	s_delay_alu instid0(VALU_DEP_1) | instskip(SKIP_2) | instid1(VALU_DEP_1)
	v_mad_co_u64_u32 v[27:28], null, 0xa2f9836e, v20, v[2:3]
	s_wait_alu 0xf1ff
	v_cndmask_b32_e64 v2, 0, 0xffffffe0, s4
	v_dual_cndmask_b32 v27, v27, v25 :: v_dual_add_nc_u32 v2, v2, v19
	s_delay_alu instid0(VALU_DEP_3) | instskip(SKIP_1) | instid1(VALU_DEP_3)
	v_dual_cndmask_b32 v26, v28, v26 :: v_dual_cndmask_b32 v25, v25, v23
	v_cndmask_b32_e32 v19, v24, v22, vcc_lo
	v_cmp_eq_u32_e32 vcc_lo, 0, v2
	s_delay_alu instid0(VALU_DEP_4) | instskip(NEXT) | instid1(VALU_DEP_4)
	v_cndmask_b32_e64 v22, v27, v29, s3
	v_cndmask_b32_e64 v24, v26, v27, s3
	;; [unrolled: 1-line block ×3, first 2 shown]
	v_sub_nc_u32_e32 v27, 32, v2
	v_cndmask_b32_e64 v25, v25, v19, s3
	v_cndmask_b32_e64 v18, v19, v18, s3
	v_cndmask_b32_e64 v24, v24, v22, s4
	v_cndmask_b32_e64 v22, v22, v26, s4
	s_delay_alu instid0(VALU_DEP_4) | instskip(NEXT) | instid1(VALU_DEP_4)
	v_cndmask_b32_e64 v26, v26, v25, s4
	v_cndmask_b32_e64 v18, v25, v18, s4
	s_delay_alu instid0(VALU_DEP_3) | instskip(NEXT) | instid1(VALU_DEP_3)
	v_alignbit_b32 v28, v24, v22, v27
	v_alignbit_b32 v23, v22, v26, v27
	s_delay_alu instid0(VALU_DEP_3) | instskip(SKIP_1) | instid1(VALU_DEP_2)
	v_alignbit_b32 v25, v26, v18, v27
	s_wait_alu 0xfffd
	v_dual_cndmask_b32 v2, v28, v24 :: v_dual_cndmask_b32 v19, v23, v22
	s_delay_alu instid0(VALU_DEP_2) | instskip(NEXT) | instid1(VALU_DEP_2)
	v_cndmask_b32_e32 v25, v25, v26, vcc_lo
	v_bfe_u32 v22, v2, 29, 1
	s_delay_alu instid0(VALU_DEP_3) | instskip(NEXT) | instid1(VALU_DEP_3)
	v_alignbit_b32 v23, v2, v19, 30
	v_alignbit_b32 v19, v19, v25, 30
	;; [unrolled: 1-line block ×3, first 2 shown]
	s_delay_alu instid0(VALU_DEP_4) | instskip(NEXT) | instid1(VALU_DEP_1)
	v_sub_nc_u32_e32 v24, 0, v22
	v_xor_b32_e32 v23, v23, v24
	s_delay_alu instid0(VALU_DEP_4) | instskip(NEXT) | instid1(VALU_DEP_4)
	v_xor_b32_e32 v19, v19, v24
	v_xor_b32_e32 v18, v18, v24
	s_delay_alu instid0(VALU_DEP_3) | instskip(NEXT) | instid1(VALU_DEP_1)
	v_clz_i32_u32_e32 v26, v23
	v_min_u32_e32 v26, 32, v26
	s_delay_alu instid0(VALU_DEP_1) | instskip(SKIP_3) | instid1(VALU_DEP_4)
	v_sub_nc_u32_e32 v25, 31, v26
	v_lshlrev_b32_e32 v27, 23, v26
	v_lshrrev_b32_e32 v24, 29, v2
	v_lshrrev_b32_e32 v2, 30, v2
	v_alignbit_b32 v23, v23, v19, v25
	v_alignbit_b32 v18, v19, v18, v25
	s_delay_alu instid0(VALU_DEP_4) | instskip(NEXT) | instid1(VALU_DEP_2)
	v_lshlrev_b32_e32 v19, 31, v24
	v_alignbit_b32 v24, v23, v18, 9
	s_delay_alu instid0(VALU_DEP_2) | instskip(SKIP_2) | instid1(VALU_DEP_4)
	v_or_b32_e32 v25, 0.5, v19
	v_lshrrev_b32_e32 v23, 9, v23
	v_or_b32_e32 v19, 0x33000000, v19
	v_clz_i32_u32_e32 v28, v24
	s_delay_alu instid0(VALU_DEP_4) | instskip(NEXT) | instid1(VALU_DEP_2)
	v_sub_nc_u32_e32 v25, v25, v27
	v_min_u32_e32 v27, 32, v28
	s_delay_alu instid0(VALU_DEP_2) | instskip(NEXT) | instid1(VALU_DEP_2)
	v_or_b32_e32 v23, v23, v25
	v_not_b32_e32 v25, v27
	v_add_lshl_u32 v26, v27, v26, 23
	s_delay_alu instid0(VALU_DEP_3) | instskip(NEXT) | instid1(VALU_DEP_3)
	v_mul_f32_e32 v28, 0x3fc90fda, v23
	v_alignbit_b32 v18, v24, v18, v25
	s_delay_alu instid0(VALU_DEP_3) | instskip(NEXT) | instid1(VALU_DEP_2)
	v_sub_nc_u32_e32 v19, v19, v26
	v_lshrrev_b32_e32 v18, 9, v18
	s_delay_alu instid0(VALU_DEP_1) | instskip(SKIP_2) | instid1(VALU_DEP_1)
	v_or_b32_e32 v18, v19, v18
	v_add_nc_u32_e32 v19, v22, v2
	v_fma_f32 v24, 0x3fc90fda, v23, -v28
	v_fmac_f32_e32 v24, 0x33a22168, v23
	s_delay_alu instid0(VALU_DEP_1) | instskip(NEXT) | instid1(VALU_DEP_1)
	v_fmac_f32_e32 v24, 0x3fc90fda, v18
	v_add_f32_e32 v18, v28, v24
.LBB5_20:                               ;   in Loop: Header=BB5_2 Depth=1
	s_or_saveexec_b32 s3, s29
	v_mul_f32_e64 v2, 0x3f22f983, |v15|
	s_delay_alu instid0(VALU_DEP_1)
	v_rndne_f32_e32 v23, v2
	s_wait_alu 0xfffe
	s_xor_b32 exec_lo, exec_lo, s3
; %bb.21:                               ;   in Loop: Header=BB5_2 Depth=1
	s_delay_alu instid0(VALU_DEP_1) | instskip(SKIP_1) | instid1(VALU_DEP_2)
	v_fma_f32 v18, 0xbfc90fda, v23, |v15|
	v_cvt_i32_f32_e32 v19, v23
	v_fmac_f32_e32 v18, 0xb3a22168, v23
	s_delay_alu instid0(VALU_DEP_1)
	v_fmac_f32_e32 v18, 0xa7c234c4, v23
; %bb.22:                               ;   in Loop: Header=BB5_2 Depth=1
	s_or_b32 exec_lo, exec_lo, s3
                                        ; implicit-def: $vgpr22
                                        ; implicit-def: $vgpr2
	s_and_saveexec_b32 s3, s28
	s_wait_alu 0xfffe
	s_xor_b32 s28, exec_lo, s3
	s_cbranch_execz .LBB5_24
; %bb.23:                               ;   in Loop: Header=BB5_2 Depth=1
	v_mad_co_u64_u32 v[22:23], null, 0xfe5163ab, v20, 0
	v_cmp_lt_u32_e32 vcc_lo, 63, v21
	s_wait_alu 0xfffd
	v_cndmask_b32_e64 v28, 0, 0xffffffc0, vcc_lo
	s_delay_alu instid0(VALU_DEP_1) | instskip(NEXT) | instid1(VALU_DEP_1)
	v_dual_mov_b32 v2, v23 :: v_dual_add_nc_u32 v21, v28, v21
	v_mad_co_u64_u32 v[23:24], null, 0x3c439041, v20, v[2:3]
	s_delay_alu instid0(VALU_DEP_2) | instskip(NEXT) | instid1(VALU_DEP_2)
	v_cmp_lt_u32_e64 s3, 31, v21
	v_mov_b32_e32 v2, v24
	s_wait_alu 0xf1ff
	s_delay_alu instid0(VALU_DEP_2) | instskip(NEXT) | instid1(VALU_DEP_2)
	v_cndmask_b32_e64 v29, 0, 0xffffffe0, s3
	v_mad_co_u64_u32 v[24:25], null, 0xdb629599, v20, v[2:3]
	s_delay_alu instid0(VALU_DEP_1) | instskip(NEXT) | instid1(VALU_DEP_2)
	v_mov_b32_e32 v2, v25
	v_cndmask_b32_e32 v22, v24, v22, vcc_lo
	s_delay_alu instid0(VALU_DEP_2) | instskip(NEXT) | instid1(VALU_DEP_1)
	v_mad_co_u64_u32 v[25:26], null, 0xf534ddc0, v20, v[2:3]
	v_dual_mov_b32 v2, v26 :: v_dual_cndmask_b32 v23, v25, v23
	s_delay_alu instid0(VALU_DEP_1) | instskip(NEXT) | instid1(VALU_DEP_1)
	v_mad_co_u64_u32 v[26:27], null, 0xfc2757d1, v20, v[2:3]
	v_mov_b32_e32 v2, v27
	s_delay_alu instid0(VALU_DEP_1) | instskip(NEXT) | instid1(VALU_DEP_1)
	v_mad_co_u64_u32 v[27:28], null, 0x4e441529, v20, v[2:3]
	v_mov_b32_e32 v2, v28
	v_add_nc_u32_e32 v28, v29, v21
	s_delay_alu instid0(VALU_DEP_3) | instskip(NEXT) | instid1(VALU_DEP_3)
	v_cndmask_b32_e32 v29, v27, v25, vcc_lo
	v_mad_co_u64_u32 v[20:21], null, 0xa2f9836e, v20, v[2:3]
	s_delay_alu instid0(VALU_DEP_3) | instskip(SKIP_1) | instid1(VALU_DEP_1)
	v_cmp_lt_u32_e64 s4, 31, v28
	s_wait_alu 0xf1ff
	v_cndmask_b32_e64 v2, 0, 0xffffffe0, s4
	s_delay_alu instid0(VALU_DEP_3) | instskip(SKIP_1) | instid1(VALU_DEP_3)
	v_dual_cndmask_b32 v20, v20, v26 :: v_dual_cndmask_b32 v21, v21, v27
	v_cndmask_b32_e32 v26, v26, v24, vcc_lo
	v_add_nc_u32_e32 v2, v2, v28
	s_delay_alu instid0(VALU_DEP_3) | instskip(NEXT) | instid1(VALU_DEP_4)
	v_cndmask_b32_e64 v25, v20, v29, s3
	v_cndmask_b32_e64 v20, v21, v20, s3
	s_delay_alu instid0(VALU_DEP_4)
	v_cndmask_b32_e64 v21, v29, v26, s3
	v_cndmask_b32_e64 v26, v26, v23, s3
	v_sub_nc_u32_e32 v27, 32, v2
	v_cmp_eq_u32_e32 vcc_lo, 0, v2
	v_cndmask_b32_e64 v20, v20, v25, s4
	v_cndmask_b32_e64 v25, v25, v21, s4
	;; [unrolled: 1-line block ×3, first 2 shown]
	s_delay_alu instid0(VALU_DEP_2) | instskip(NEXT) | instid1(VALU_DEP_2)
	v_alignbit_b32 v28, v20, v25, v27
	v_alignbit_b32 v24, v25, v21, v27
	s_wait_alu 0xfffd
	s_delay_alu instid0(VALU_DEP_2) | instskip(SKIP_1) | instid1(VALU_DEP_3)
	v_cndmask_b32_e32 v2, v28, v20, vcc_lo
	v_cndmask_b32_e64 v20, v23, v22, s3
	v_cndmask_b32_e32 v22, v24, v25, vcc_lo
	s_delay_alu instid0(VALU_DEP_3) | instskip(NEXT) | instid1(VALU_DEP_3)
	v_bfe_u32 v23, v2, 29, 1
	v_cndmask_b32_e64 v20, v26, v20, s4
	s_delay_alu instid0(VALU_DEP_3) | instskip(NEXT) | instid1(VALU_DEP_3)
	v_alignbit_b32 v24, v2, v22, 30
	v_sub_nc_u32_e32 v25, 0, v23
	s_delay_alu instid0(VALU_DEP_3) | instskip(NEXT) | instid1(VALU_DEP_2)
	v_alignbit_b32 v26, v21, v20, v27
	v_xor_b32_e32 v24, v24, v25
	s_delay_alu instid0(VALU_DEP_2) | instskip(NEXT) | instid1(VALU_DEP_2)
	v_cndmask_b32_e32 v21, v26, v21, vcc_lo
	v_clz_i32_u32_e32 v26, v24
	s_delay_alu instid0(VALU_DEP_2) | instskip(SKIP_1) | instid1(VALU_DEP_3)
	v_alignbit_b32 v22, v22, v21, 30
	v_alignbit_b32 v20, v21, v20, 30
	v_min_u32_e32 v26, 32, v26
	s_delay_alu instid0(VALU_DEP_3) | instskip(NEXT) | instid1(VALU_DEP_3)
	v_xor_b32_e32 v21, v22, v25
	v_xor_b32_e32 v20, v20, v25
	s_delay_alu instid0(VALU_DEP_3) | instskip(SKIP_2) | instid1(VALU_DEP_3)
	v_sub_nc_u32_e32 v22, 31, v26
	v_lshlrev_b32_e32 v27, 23, v26
	v_lshrrev_b32_e32 v25, 29, v2
	v_alignbit_b32 v24, v24, v21, v22
	v_alignbit_b32 v20, v21, v20, v22
	s_delay_alu instid0(VALU_DEP_3) | instskip(NEXT) | instid1(VALU_DEP_2)
	v_lshlrev_b32_e32 v21, 31, v25
	v_alignbit_b32 v22, v24, v20, 9
	s_delay_alu instid0(VALU_DEP_2) | instskip(SKIP_2) | instid1(VALU_DEP_4)
	v_or_b32_e32 v25, 0.5, v21
	v_lshrrev_b32_e32 v24, 9, v24
	v_or_b32_e32 v21, 0x33000000, v21
	v_clz_i32_u32_e32 v28, v22
	s_delay_alu instid0(VALU_DEP_4) | instskip(NEXT) | instid1(VALU_DEP_2)
	v_sub_nc_u32_e32 v25, v25, v27
	v_min_u32_e32 v27, 32, v28
	s_delay_alu instid0(VALU_DEP_2) | instskip(NEXT) | instid1(VALU_DEP_2)
	v_or_b32_e32 v24, v24, v25
	v_not_b32_e32 v25, v27
	s_delay_alu instid0(VALU_DEP_2) | instskip(SKIP_1) | instid1(VALU_DEP_3)
	v_mul_f32_e32 v28, 0x3fc90fda, v24
	v_add_lshl_u32 v26, v27, v26, 23
	v_alignbit_b32 v20, v22, v20, v25
	s_delay_alu instid0(VALU_DEP_3) | instskip(NEXT) | instid1(VALU_DEP_3)
	v_fma_f32 v22, 0x3fc90fda, v24, -v28
	v_sub_nc_u32_e32 v21, v21, v26
	s_delay_alu instid0(VALU_DEP_3) | instskip(NEXT) | instid1(VALU_DEP_3)
	v_lshrrev_b32_e32 v20, 9, v20
	v_fmac_f32_e32 v22, 0x33a22168, v24
	s_delay_alu instid0(VALU_DEP_2) | instskip(NEXT) | instid1(VALU_DEP_1)
	v_or_b32_e32 v20, v21, v20
	v_fmac_f32_e32 v22, 0x3fc90fda, v20
	v_lshrrev_b32_e32 v20, 30, v2
	s_delay_alu instid0(VALU_DEP_2) | instskip(NEXT) | instid1(VALU_DEP_2)
	v_add_f32_e32 v2, v28, v22
	v_add_nc_u32_e32 v22, v23, v20
                                        ; implicit-def: $vgpr23
	s_and_not1_saveexec_b32 s3, s28
	s_cbranch_execz .LBB5_1
	s_branch .LBB5_25
.LBB5_24:                               ;   in Loop: Header=BB5_2 Depth=1
	s_and_not1_saveexec_b32 s3, s28
	s_cbranch_execz .LBB5_1
.LBB5_25:                               ;   in Loop: Header=BB5_2 Depth=1
	v_fma_f32 v2, 0xbfc90fda, v23, |v15|
	v_cvt_i32_f32_e32 v22, v23
	s_delay_alu instid0(VALU_DEP_2) | instskip(NEXT) | instid1(VALU_DEP_1)
	v_fmac_f32_e32 v2, 0xb3a22168, v23
	v_fmac_f32_e32 v2, 0xa7c234c4, v23
	s_branch .LBB5_1
.LBB5_26:
	s_clause 0x1
	s_load_b64 s[12:13], s[0:1], 0x0
	s_load_b128 s[4:7], s[0:1], 0x48
	scratch_load_b128 v[0:3], off, off offset:128
	v_mov_b32_e32 v4, 0
	s_add_nc_u64 s[8:9], s[8:9], 8
	s_wait_kmcnt 0x0
	s_max_i32 s1, s13, 1
	s_mov_b32 s13, 0
	s_max_i32 s3, s12, 1
	s_wait_alu 0xfffe
	s_mov_b32 s12, s13
	s_wait_loadcnt 0x0
	scratch_store_b128 off, v[0:3], off offset:1664 ; 16-byte Folded Spill
	scratch_load_b128 v[0:3], off, off offset:144
	s_wait_loadcnt 0x0
	scratch_store_b128 off, v[0:3], off offset:1680 ; 16-byte Folded Spill
	scratch_load_b128 v[0:3], off, off offset:160
	;; [unrolled: 3-line block ×74, first 2 shown]
	s_wait_loadcnt 0x0
	scratch_store_b128 off, v[0:3], off offset:2900 ; 16-byte Folded Spill
.LBB5_27:                               ; =>This Loop Header: Depth=1
                                        ;     Child Loop BB5_28 Depth 2
	s_wait_alu 0xfffe
	s_lshl_b64 s[14:15], s[12:13], 4
	s_mov_b32 s20, s1
	s_wait_alu 0xfffe
	s_add_nc_u64 s[14:15], s[10:11], s[14:15]
	global_load_b128 v[108:111], v4, s[14:15]
	s_clause 0x1
	scratch_load_b128 v[0:3], off, off offset:1328
	scratch_load_b128 v[4:7], off, off offset:1344
	s_mov_b64 s[14:15], s[8:9]
	s_wait_loadcnt 0x1
	v_fma_f32 v0, v108, v0, v3
	s_delay_alu instid0(VALU_DEP_1) | instskip(NEXT) | instid1(VALU_DEP_1)
	v_fmac_f32_e32 v0, v109, v1
	v_fmac_f32_e32 v0, v110, v2
	scratch_store_b32 off, v0, off offset:1948 ; 4-byte Folded Spill
	s_wait_loadcnt 0x0
	v_fma_f32 v0, v108, v4, v7
	s_delay_alu instid0(VALU_DEP_1) | instskip(NEXT) | instid1(VALU_DEP_1)
	v_fmac_f32_e32 v0, v109, v5
	v_fmac_f32_e32 v0, v110, v6
	scratch_store_b32 off, v0, off offset:1936 ; 4-byte Folded Spill
	s_clause 0x1
	scratch_load_b128 v[0:3], off, off offset:1360
	scratch_load_b128 v[4:7], off, off offset:1376
	s_wait_loadcnt 0x1
	v_fma_f32 v0, v108, v0, v3
	s_delay_alu instid0(VALU_DEP_1) | instskip(NEXT) | instid1(VALU_DEP_1)
	v_fmac_f32_e32 v0, v109, v1
	v_fmac_f32_e32 v0, v110, v2
	scratch_store_b32 off, v0, off offset:1956 ; 4-byte Folded Spill
	s_wait_loadcnt 0x0
	v_fma_f32 v0, v108, v4, v7
	s_delay_alu instid0(VALU_DEP_1) | instskip(NEXT) | instid1(VALU_DEP_1)
	v_fmac_f32_e32 v0, v109, v5
	v_fmac_f32_e32 v0, v110, v6
	scratch_store_b32 off, v0, off offset:1940 ; 4-byte Folded Spill
	s_clause 0x1
	scratch_load_b128 v[0:3], off, off offset:1392
	scratch_load_b128 v[4:7], off, off offset:1408
	;; [unrolled: 15-line block ×4, first 2 shown]
	s_wait_loadcnt 0x1
	v_fma_f32 v191, v108, v0, v3
	s_wait_loadcnt 0x0
	v_fma_f32 v0, v108, v4, v7
	s_delay_alu instid0(VALU_DEP_2) | instskip(NEXT) | instid1(VALU_DEP_1)
	v_fmac_f32_e32 v191, v109, v1
	v_dual_fmac_f32 v0, v109, v5 :: v_dual_fmac_f32 v191, v110, v2
	s_delay_alu instid0(VALU_DEP_1)
	v_fmac_f32_e32 v0, v110, v6
	scratch_store_b32 off, v0, off offset:1952 ; 4-byte Folded Spill
	s_clause 0x1
	scratch_load_b128 v[0:3], off, off offset:1488
	scratch_load_b128 v[4:7], off, off offset:1504
	s_wait_loadcnt 0x1
	v_fma_f32 v42, v108, v0, v3
	s_wait_loadcnt 0x0
	v_fma_f32 v0, v108, v4, v7
	s_delay_alu instid0(VALU_DEP_2) | instskip(NEXT) | instid1(VALU_DEP_2)
	v_fmac_f32_e32 v42, v109, v1
	v_fmac_f32_e32 v0, v109, v5
	s_delay_alu instid0(VALU_DEP_2) | instskip(NEXT) | instid1(VALU_DEP_2)
	v_fmac_f32_e32 v42, v110, v2
	v_fmac_f32_e32 v0, v110, v6
	scratch_store_b32 off, v0, off offset:1964 ; 4-byte Folded Spill
	s_clause 0x1
	scratch_load_b128 v[0:3], off, off offset:1520
	scratch_load_b128 v[4:7], off, off offset:1536
	s_wait_loadcnt 0x1
	v_fma_f32 v9, v108, v0, v3
	s_wait_loadcnt 0x0
	v_fma_f32 v0, v108, v4, v7
	s_delay_alu instid0(VALU_DEP_2) | instskip(NEXT) | instid1(VALU_DEP_1)
	v_fmac_f32_e32 v9, v109, v1
	v_dual_fmac_f32 v0, v109, v5 :: v_dual_fmac_f32 v9, v110, v2
	s_delay_alu instid0(VALU_DEP_1)
	v_fmac_f32_e32 v0, v110, v6
	scratch_store_b32 off, v0, off offset:1972 ; 4-byte Folded Spill
	s_clause 0x1
	scratch_load_b128 v[0:3], off, off offset:1552
	scratch_load_b128 v[4:7], off, off offset:1568
	s_wait_loadcnt 0x1
	v_fma_f32 v62, v108, v0, v3
	s_wait_loadcnt 0x0
	v_fma_f32 v10, v108, v4, v7
	s_delay_alu instid0(VALU_DEP_2) | instskip(NEXT) | instid1(VALU_DEP_2)
	v_fmac_f32_e32 v62, v109, v1
	v_fmac_f32_e32 v10, v109, v5
	s_delay_alu instid0(VALU_DEP_2) | instskip(NEXT) | instid1(VALU_DEP_2)
	v_fmac_f32_e32 v62, v110, v2
	v_fmac_f32_e32 v10, v110, v6
	s_clause 0x1
	scratch_load_b128 v[0:3], off, off offset:1584
	scratch_load_b128 v[4:7], off, off offset:1600
	s_wait_loadcnt 0x1
	v_fma_f32 v28, v108, v0, v3
	s_wait_loadcnt 0x0
	v_fma_f32 v11, v108, v4, v7
	s_delay_alu instid0(VALU_DEP_2) | instskip(NEXT) | instid1(VALU_DEP_1)
	v_fmac_f32_e32 v28, v109, v1
	v_dual_fmac_f32 v11, v109, v5 :: v_dual_fmac_f32 v28, v110, v2
	s_delay_alu instid0(VALU_DEP_1)
	v_fmac_f32_e32 v11, v110, v6
	s_clause 0x10
	scratch_load_b128 v[0:3], off, off offset:1616
	scratch_load_b128 v[4:7], off, off offset:1632
	scratch_load_b128 v[68:71], off, off offset:2532
	scratch_load_b128 v[55:58], off, off offset:2548
	scratch_load_b128 v[12:15], off, off offset:1728
	scratch_load_b128 v[32:35], off, off offset:1904
	scratch_load_b128 v[143:146], off, off offset:1988
	scratch_load_b128 v[136:139], off, off offset:2004
	scratch_load_b128 v[122:125], off, off offset:2036
	scratch_load_b128 v[113:116], off, off offset:2100
	scratch_load_b128 v[147:150], off, off offset:2180
	scratch_load_b128 v[92:95], off, off offset:2404
	scratch_load_b128 v[88:91], off, off offset:2420
	scratch_load_b128 v[45:48], off, off offset:2644
	scratch_load_b128 v[80:83], off, off offset:2484
	scratch_load_b128 v[72:75], off, off offset:2516
	scratch_load_b128 v[64:67], off, off offset:2772
	s_wait_loadcnt 0x10
	v_fma_f32 v190, v108, v0, v3
	s_wait_loadcnt 0xf
	v_fma_f32 v4, v108, v4, v7
	s_delay_alu instid0(VALU_DEP_2) | instskip(NEXT) | instid1(VALU_DEP_2)
	v_fmac_f32_e32 v190, v109, v1
	v_fmac_f32_e32 v4, v109, v5
	s_wait_loadcnt 0xb
	v_fma_f32 v32, v108, v32, v35
	s_wait_loadcnt 0x7
	v_fma_f32 v26, v108, v113, v116
	v_fmac_f32_e32 v190, v110, v2
	scratch_load_b128 v[0:3], off, off offset:1648
	v_fmac_f32_e32 v4, v110, v6
	scratch_load_b128 v[5:8], off, off offset:1664 ; 16-byte Folded Reload
	v_fmac_f32_e32 v32, v109, v33
	scratch_load_b128 v[33:36], off, off offset:1920 ; 16-byte Folded Reload
	v_fmac_f32_e32 v26, v109, v114
	s_wait_loadcnt 0x7
	v_fma_f32 v91, v108, v88, v91
	v_fma_f32 v92, v108, v92, v95
	scratch_load_b128 v[95:98], off, off offset:2452 ; 16-byte Folded Reload
	v_fmac_f32_e32 v91, v109, v89
	scratch_load_b128 v[86:89], off, off offset:2436 ; 16-byte Folded Reload
	v_fmac_f32_e32 v91, v110, v90
	s_wait_loadcnt 0x4
	v_fma_f32 v0, v108, v0, v3
	s_wait_loadcnt 0x2
	v_fma_f32 v33, v108, v33, v36
	s_delay_alu instid0(VALU_DEP_2) | instskip(NEXT) | instid1(VALU_DEP_1)
	v_dual_fmac_f32 v0, v109, v1 :: v_dual_mov_b32 v1, v111
	v_fmac_f32_e32 v0, v110, v2
	v_ashrrev_i32_e32 v2, 31, v111
	scratch_load_b128 v[111:114], off, off offset:2116 ; 16-byte Folded Reload
	s_wait_loadcnt 0x1
	v_fma_f32 v89, v108, v86, v89
	scratch_store_b64 off, v[1:2], off offset:1980 ; 8-byte Folded Spill
	v_fma_f32 v1, v108, v5, v8
	v_fmac_f32_e32 v89, v109, v87
	scratch_load_b128 v[84:87], off, off offset:2468 ; 16-byte Folded Reload
	v_fmac_f32_e32 v1, v109, v6
	scratch_load_b128 v[5:8], off, off offset:1680 ; 16-byte Folded Reload
	v_fmac_f32_e32 v89, v110, v88
	s_wait_loadcnt 0x2
	v_fma_f32 v27, v108, v111, v114
	s_delay_alu instid0(VALU_DEP_1) | instskip(SKIP_4) | instid1(VALU_DEP_1)
	v_fmac_f32_e32 v27, v109, v112
	s_wait_loadcnt 0x1
	v_fma_f32 v84, v108, v84, v87
	s_wait_loadcnt 0x0
	v_fma_f32 v2, v108, v5, v8
	v_fmac_f32_e32 v2, v109, v6
	scratch_load_b128 v[5:8], off, off offset:1696 ; 16-byte Folded Reload
	s_wait_loadcnt 0x0
	v_fma_f32 v3, v108, v5, v8
	s_delay_alu instid0(VALU_DEP_1) | instskip(SKIP_3) | instid1(VALU_DEP_1)
	v_fmac_f32_e32 v3, v109, v6
	scratch_load_b128 v[5:8], off, off offset:1712 ; 16-byte Folded Reload
	s_wait_loadcnt 0x0
	v_fma_f32 v5, v108, v5, v8
	v_fmac_f32_e32 v5, v109, v6
	v_fma_f32 v6, v108, v12, v15
	s_delay_alu instid0(VALU_DEP_1) | instskip(SKIP_3) | instid1(VALU_DEP_1)
	v_fmac_f32_e32 v6, v109, v13
	scratch_load_b128 v[12:15], off, off offset:1744 ; 16-byte Folded Reload
	s_wait_loadcnt 0x0
	v_fma_f32 v7, v108, v12, v15
	v_fmac_f32_e32 v7, v109, v13
	scratch_load_b128 v[12:15], off, off offset:1760 ; 16-byte Folded Reload
	s_wait_loadcnt 0x0
	v_fma_f32 v8, v108, v12, v15
	s_delay_alu instid0(VALU_DEP_1) | instskip(SKIP_3) | instid1(VALU_DEP_1)
	v_fmac_f32_e32 v8, v109, v13
	scratch_load_b128 v[12:15], off, off offset:1776 ; 16-byte Folded Reload
	s_wait_loadcnt 0x0
	v_fma_f32 v12, v108, v12, v15
	v_fmac_f32_e32 v12, v109, v13
	scratch_load_b128 v[13:16], off, off offset:1792 ; 16-byte Folded Reload
	s_wait_loadcnt 0x0
	v_fma_f32 v13, v108, v13, v16
	s_delay_alu instid0(VALU_DEP_1) | instskip(SKIP_3) | instid1(VALU_DEP_1)
	v_fmac_f32_e32 v13, v109, v14
	scratch_load_b128 v[14:17], off, off offset:1808 ; 16-byte Folded Reload
	s_wait_loadcnt 0x0
	v_fma_f32 v14, v108, v14, v17
	v_fmac_f32_e32 v14, v109, v15
	scratch_load_b128 v[15:18], off, off offset:1824 ; 16-byte Folded Reload
	v_fmac_f32_e32 v33, v109, v34
	v_fma_f32 v34, v108, v147, v150
	scratch_load_b128 v[150:153], off, off offset:2196 ; 16-byte Folded Reload
	s_wait_loadcnt 0x1
	v_fma_f32 v15, v108, v15, v18
	s_wait_loadcnt 0x0
	v_fma_f32 v111, v108, v150, v153
	scratch_load_b128 v[153:156], off, off offset:2212 ; 16-byte Folded Reload
	v_fmac_f32_e32 v15, v109, v16
	scratch_load_b128 v[16:19], off, off offset:1840 ; 16-byte Folded Reload
	v_fmac_f32_e32 v111, v109, v151
	v_fma_f32 v151, v108, v72, v75
	v_fma_f32 v75, v108, v45, v48
	scratch_load_b128 v[48:51], off, off offset:2660 ; 16-byte Folded Reload
	v_fmac_f32_e32 v151, v109, v73
	v_fmac_f32_e32 v75, v109, v46
	s_wait_loadcnt 0x2
	v_fma_f32 v112, v108, v153, v156
	scratch_load_b128 v[156:159], off, off offset:2228 ; 16-byte Folded Reload
	s_wait_loadcnt 0x2
	v_fma_f32 v16, v108, v16, v19
	v_fma_f32 v153, v108, v95, v98
	scratch_load_b128 v[98:101], off, off offset:2596 ; 16-byte Folded Reload
	v_fmac_f32_e32 v112, v109, v154
	v_fmac_f32_e32 v16, v109, v17
	scratch_load_b128 v[17:20], off, off offset:1856 ; 16-byte Folded Reload
	s_wait_loadcnt 0x3
	v_fma_f32 v46, v108, v48, v51
	v_fmac_f32_e32 v153, v109, v96
	s_delay_alu instid0(VALU_DEP_2) | instskip(NEXT) | instid1(VALU_DEP_1)
	v_fmac_f32_e32 v46, v109, v49
	v_fmac_f32_e32 v46, v110, v50
	s_wait_loadcnt 0x2
	v_fma_f32 v154, v108, v156, v159
	scratch_load_b128 v[159:162], off, off offset:2244 ; 16-byte Folded Reload
	s_wait_loadcnt 0x2
	v_fma_f32 v72, v108, v98, v101
	scratch_load_b128 v[101:104], off, off offset:2612 ; 16-byte Folded Reload
	v_mov_b32_e32 v98, v27
	s_wait_loadcnt 0x2
	v_fma_f32 v17, v108, v17, v20
	s_delay_alu instid0(VALU_DEP_1)
	v_dual_fmac_f32 v98, v110, v113 :: v_dual_fmac_f32 v17, v109, v18
	scratch_load_b128 v[18:21], off, off offset:1872 ; 16-byte Folded Reload
	s_wait_loadcnt 0x2
	v_fma_f32 v156, v108, v159, v162
	scratch_load_b128 v[162:165], off, off offset:2260 ; 16-byte Folded Reload
	s_wait_loadcnt 0x2
	v_fma_f32 v73, v108, v101, v104
	scratch_load_b128 v[104:107], off, off offset:2628 ; 16-byte Folded Reload
	v_fmac_f32_e32 v73, v109, v102
	s_wait_loadcnt 0x2
	v_fma_f32 v18, v108, v18, v21
	s_delay_alu instid0(VALU_DEP_1)
	v_fmac_f32_e32 v18, v109, v19
	scratch_load_b128 v[19:22], off, off offset:1888 ; 16-byte Folded Reload
	s_wait_loadcnt 0x0
	v_fma_f32 v63, v108, v19, v22
	v_fma_f32 v22, v108, v122, v125
	scratch_load_b128 v[125:128], off, off offset:2052 ; 16-byte Folded Reload
	v_fma_f32 v19, v108, v143, v146
	v_fmac_f32_e32 v63, v109, v20
	v_fma_f32 v20, v108, v136, v139
	scratch_load_b128 v[139:142], off, off offset:2020 ; 16-byte Folded Reload
	v_fmac_f32_e32 v22, v109, v123
	scratch_load_b128 v[120:123], off, off offset:2068 ; 16-byte Folded Reload
	v_fmac_f32_e32 v34, v109, v148
	v_fma_f32 v148, v108, v80, v83
	v_fmac_f32_e32 v19, v109, v144
	s_wait_loadcnt 0x2
	v_fma_f32 v23, v108, v125, v128
	scratch_load_b128 v[128:131], off, off offset:2148 ; 16-byte Folded Reload
	v_fmac_f32_e32 v154, v109, v157
	v_fma_f32 v157, v108, v162, v165
	scratch_load_b128 v[165:168], off, off offset:2276 ; 16-byte Folded Reload
	s_wait_loadcnt 0x3
	v_fma_f32 v21, v108, v139, v142
	v_fmac_f32_e32 v23, v109, v126
	s_wait_loadcnt 0x2
	v_fma_f32 v24, v108, v120, v123
	v_fmac_f32_e32 v157, v109, v163
	v_dual_fmac_f32 v84, v109, v85 :: v_dual_mov_b32 v85, v22
	v_fmac_f32_e32 v21, v109, v140
	s_delay_alu instid0(VALU_DEP_4)
	v_fmac_f32_e32 v24, v109, v121
	scratch_load_b128 v[118:121], off, off offset:2084 ; 16-byte Folded Reload
	v_fmac_f32_e32 v157, v110, v164
	v_fmac_f32_e32 v85, v110, v124
	;; [unrolled: 1-line block ×3, first 2 shown]
	s_wait_loadcnt 0x2
	v_fma_f32 v30, v108, v128, v131
	scratch_load_b128 v[131:134], off, off offset:2164 ; 16-byte Folded Reload
	s_wait_loadcnt 0x2
	v_fma_f32 v159, v108, v165, v168
	scratch_load_b128 v[168:171], off, off offset:2292 ; 16-byte Folded Reload
	v_fmac_f32_e32 v30, v109, v129
	v_fmac_f32_e32 v159, v109, v166
	;; [unrolled: 1-line block ×3, first 2 shown]
	scratch_load_b128 v[78:81], off, off offset:2500 ; 16-byte Folded Reload
	v_mov_b32_e32 v101, v30
	s_wait_loadcnt 0x3
	v_fma_f32 v25, v108, v118, v121
	s_delay_alu instid0(VALU_DEP_2) | instskip(NEXT) | instid1(VALU_DEP_2)
	v_fmac_f32_e32 v101, v110, v130
	v_fmac_f32_e32 v25, v109, v119
	scratch_load_b128 v[116:119], off, off offset:2132 ; 16-byte Folded Reload
	v_fmac_f32_e32 v156, v109, v160
	s_wait_loadcnt 0x3
	v_fma_f32 v31, v108, v131, v134
	s_wait_loadcnt 0x2
	v_fma_f32 v160, v108, v168, v171
	scratch_load_b128 v[171:174], off, off offset:2308 ; 16-byte Folded Reload
	v_fmac_f32_e32 v31, v109, v132
	v_fmac_f32_e32 v160, v109, v169
	s_wait_loadcnt 0x2
	v_fma_f32 v150, v108, v78, v81
	s_delay_alu instid0(VALU_DEP_3) | instskip(NEXT) | instid1(VALU_DEP_3)
	v_mov_b32_e32 v102, v31
	v_fmac_f32_e32 v160, v110, v170
	s_delay_alu instid0(VALU_DEP_2) | instskip(SKIP_2) | instid1(VALU_DEP_1)
	v_fmac_f32_e32 v102, v110, v133
	s_wait_loadcnt 0x1
	v_fma_f32 v29, v108, v116, v119
	v_fmac_f32_e32 v29, v109, v117
	s_wait_loadcnt 0x0
	v_fma_f32 v162, v108, v171, v174
	scratch_load_b128 v[174:177], off, off offset:2324 ; 16-byte Folded Reload
	v_fma_f32 v171, v108, v68, v71
	v_fma_f32 v68, v108, v55, v58
	scratch_load_b128 v[58:61], off, off offset:2564 ; 16-byte Folded Reload
	v_fmac_f32_e32 v171, v109, v69
	s_wait_loadcnt 0x1
	v_fma_f32 v163, v108, v174, v177
	scratch_load_b128 v[177:180], off, off offset:2340 ; 16-byte Folded Reload
	v_fmac_f32_e32 v68, v109, v56
	scratch_load_b128 v[53:56], off, off offset:2676 ; 16-byte Folded Reload
	v_fmac_f32_e32 v163, v109, v175
	v_fmac_f32_e32 v150, v109, v79
	scratch_load_b128 v[76:79], off, off offset:2580 ; 16-byte Folded Reload
	s_wait_loadcnt 0x3
	v_fma_f32 v69, v108, v58, v61
	v_fma_f32 v61, v108, v104, v107
	v_dual_mov_b32 v104, v32 :: v_dual_mov_b32 v83, v21
	v_fmac_f32_e32 v163, v110, v176
	s_delay_alu instid0(VALU_DEP_3)
	v_dual_fmac_f32 v150, v110, v80 :: v_dual_fmac_f32 v61, v109, v105
	s_wait_loadcnt 0x2
	v_fma_f32 v165, v108, v177, v180
	scratch_load_b128 v[180:183], off, off offset:2356 ; 16-byte Folded Reload
	s_wait_loadcnt 0x2
	v_fma_f32 v48, v108, v53, v56
	s_wait_loadcnt 0x1
	v_fma_f32 v71, v108, v76, v79
	s_delay_alu instid0(VALU_DEP_2) | instskip(SKIP_4) | instid1(VALU_DEP_3)
	v_fmac_f32_e32 v48, v109, v54
	scratch_load_b128 v[51:54], off, off offset:2708 ; 16-byte Folded Reload
	v_mov_b32_e32 v79, v19
	v_fmac_f32_e32 v71, v109, v77
	v_dual_mov_b32 v77, v18 :: v_dual_fmac_f32 v20, v109, v137
	v_fmac_f32_e32 v79, v110, v145
	v_mov_b32_e32 v96, v26
	s_delay_alu instid0(VALU_DEP_3) | instskip(NEXT) | instid1(VALU_DEP_2)
	v_dual_fmac_f32 v48, v110, v55 :: v_dual_mov_b32 v81, v20
	v_fmac_f32_e32 v96, v110, v115
	s_delay_alu instid0(VALU_DEP_2)
	v_fmac_f32_e32 v81, v110, v138
	s_wait_loadcnt 0x1
	v_fma_f32 v166, v108, v180, v183
	scratch_load_b128 v[183:186], off, off offset:2372 ; 16-byte Folded Reload
	v_fmac_f32_e32 v166, v109, v181
	s_wait_loadcnt 0x1
	v_fma_f32 v49, v108, v51, v54
	v_mov_b32_e32 v51, v12
	s_delay_alu instid0(VALU_DEP_2) | instskip(SKIP_2) | instid1(VALU_DEP_3)
	v_fmac_f32_e32 v49, v109, v52
	v_dual_mov_b32 v52, v13 :: v_dual_fmac_f32 v83, v110, v141
	v_mov_b32_e32 v107, v34
	v_fmac_f32_e32 v49, v110, v53
	s_delay_alu instid0(VALU_DEP_2) | instskip(SKIP_2) | instid1(VALU_DEP_2)
	v_fmac_f32_e32 v107, v110, v149
	v_dual_mov_b32 v149, v111 :: v_dual_fmac_f32 v92, v109, v93
	v_dual_mov_b32 v93, v24 :: v_dual_fmac_f32 v166, v110, v182
	v_fmac_f32_e32 v149, v110, v152
	s_delay_alu instid0(VALU_DEP_3) | instskip(NEXT) | instid1(VALU_DEP_3)
	v_fmac_f32_e32 v92, v110, v94
	v_fmac_f32_e32 v93, v110, v122
	;; [unrolled: 1-line block ×3, first 2 shown]
	s_wait_loadcnt 0x0
	v_fma_f32 v168, v108, v183, v186
	scratch_load_b128 v[186:189], off, off offset:2388 ; 16-byte Folded Reload
	v_fmac_f32_e32 v168, v109, v184
	s_delay_alu instid0(VALU_DEP_1) | instskip(SKIP_2) | instid1(VALU_DEP_1)
	v_fmac_f32_e32 v168, v110, v185
	s_wait_loadcnt 0x0
	v_fma_f32 v169, v108, v186, v189
	v_fmac_f32_e32 v169, v109, v187
	v_fmac_f32_e32 v72, v109, v99
	v_mov_b32_e32 v99, v29
	scratch_load_b128 v[29:32], off, off offset:2692 ; 16-byte Folded Reload
	v_fmac_f32_e32 v169, v110, v188
	v_fmac_f32_e32 v72, v110, v100
	s_wait_loadcnt 0x0
	v_fma_f32 v29, v108, v29, v32
	s_delay_alu instid0(VALU_DEP_1)
	v_dual_fmac_f32 v29, v109, v30 :: v_dual_mov_b32 v30, v11
	v_dual_mov_b32 v95, v25 :: v_dual_mov_b32 v76, v17
	scratch_load_b128 v[24:27], off, off offset:2724 ; 16-byte Folded Reload
	v_mov_b32_e32 v105, v33
	scratch_load_b128 v[32:35], off, off offset:2740 ; 16-byte Folded Reload
	v_dual_fmac_f32 v95, v110, v120 :: v_dual_mov_b32 v152, v112
	v_fmac_f32_e32 v29, v110, v31
	s_delay_alu instid0(VALU_DEP_2) | instskip(SKIP_2) | instid1(VALU_DEP_1)
	v_fmac_f32_e32 v152, v110, v155
	s_wait_loadcnt 0x1
	v_fma_f32 v24, v108, v24, v27
	v_dual_mov_b32 v27, v10 :: v_dual_fmac_f32 v24, v109, v25
	s_wait_loadcnt 0x0
	v_fma_f32 v25, v108, v32, v35
	v_dual_mov_b32 v32, v4 :: v_dual_mov_b32 v87, v23
	s_clause 0x1
	scratch_load_b128 v[20:23], off, off offset:2756
	scratch_load_b128 v[35:38], off, off offset:2788
	v_fmac_f32_e32 v25, v109, v33
	v_mov_b32_e32 v33, v0
	v_fmac_f32_e32 v87, v110, v127
	s_wait_loadcnt 0x1
	v_fma_f32 v20, v108, v20, v23
	s_delay_alu instid0(VALU_DEP_1)
	v_fmac_f32_e32 v20, v109, v21
	v_fma_f32 v21, v108, v64, v67
	v_mov_b32_e32 v67, v16
	scratch_load_b128 v[16:19], off, off offset:2804 ; 16-byte Folded Reload
	v_mov_b32_e32 v64, v14
	s_wait_loadcnt 0x1
	v_fma_f32 v23, v108, v35, v38
	v_fmac_f32_e32 v21, v109, v65
	v_mov_b32_e32 v65, v15
	s_clause 0x1
	scratch_load_b128 v[38:41], off, off offset:2820
	scratch_load_b128 v[12:15], off, off offset:2836
	v_fmac_f32_e32 v165, v109, v178
	v_mov_b32_e32 v35, v1
	v_fmac_f32_e32 v23, v109, v36
	v_fmac_f32_e32 v21, v110, v66
	s_delay_alu instid0(VALU_DEP_2) | instskip(SKIP_3) | instid1(VALU_DEP_2)
	v_fmac_f32_e32 v23, v110, v37
	s_wait_loadcnt 0x2
	v_fma_f32 v16, v108, v16, v19
	v_mov_b32_e32 v19, v9
	v_fmac_f32_e32 v16, v109, v17
	s_wait_loadcnt 0x1
	v_fma_f32 v17, v108, v38, v41
	s_wait_loadcnt 0x0
	v_fma_f32 v12, v108, v12, v15
	v_mov_b32_e32 v15, v42
	scratch_load_b128 v[41:44], off, off offset:2852 ; 16-byte Folded Reload
	v_dual_mov_b32 v38, v3 :: v_dual_fmac_f32 v17, v109, v39
	v_fmac_f32_e32 v12, v109, v13
	v_mov_b32_e32 v39, v5
	v_fmac_f32_e32 v165, v110, v179
	v_fmac_f32_e32 v68, v110, v57
	s_delay_alu instid0(VALU_DEP_4)
	v_fmac_f32_e32 v12, v110, v14
	s_wait_loadcnt 0x0
	v_fma_f32 v13, v108, v41, v44
	v_mov_b32_e32 v44, v8
	scratch_load_b128 v[8:11], off, off offset:2868 ; 16-byte Folded Reload
	v_dual_mov_b32 v41, v6 :: v_dual_mov_b32 v36, v2
	v_dual_fmac_f32 v13, v109, v42 :: v_dual_mov_b32 v42, v7
	v_fmac_f32_e32 v159, v110, v167
	v_fmac_f32_e32 v153, v110, v97
	;; [unrolled: 1-line block ×5, first 2 shown]
	s_wait_loadcnt 0x0
	v_fma_f32 v8, v108, v8, v11
	s_delay_alu instid0(VALU_DEP_1)
	v_fmac_f32_e32 v8, v109, v9
	s_clause 0x1
	scratch_load_b32 v9, off, off offset:1976
	scratch_load_b128 v[4:7], off, off offset:2884
	v_fmac_f32_e32 v8, v110, v10
	s_wait_loadcnt 0x0
	v_fma_f32 v45, v108, v4, v7
	scratch_load_b32 v7, off, off offset:1968 ; 4-byte Folded Reload
	v_dual_mov_b32 v4, 0 :: v_dual_fmac_f32 v75, v110, v47
	v_fmac_f32_e32 v45, v109, v5
	s_clause 0x1
	scratch_load_b32 v5, off, off offset:1960
	scratch_load_b128 v[0:3], off, off offset:2900
	v_fmac_f32_e32 v45, v110, v6
	s_wait_loadcnt 0x0
	v_fma_f32 v0, v108, v0, v3
	scratch_load_b32 v3, off, off offset:1956 ; 4-byte Folded Reload
	v_fmac_f32_e32 v0, v109, v1
	s_clause 0x5
	scratch_load_b32 v1, off, off offset:1948
	scratch_load_b128 v[134:137], off, off offset:1664
	scratch_load_b128 v[113:116], off, off offset:1904
	scratch_load_b32 v6, off, off offset:1940
	scratch_load_b32 v10, off, off offset:1944
	;; [unrolled: 1-line block ×3, first 2 shown]
	s_wait_loadcnt 0x4
	v_fmac_f32_e32 v35, v110, v136
	scratch_load_b128 v[134:137], off, off offset:1680 ; 16-byte Folded Reload
	s_wait_loadcnt 0x4
	v_fmac_f32_e32 v104, v110, v115
	scratch_load_b128 v[113:116], off, off offset:1920 ; 16-byte Folded Reload
	v_fmac_f32_e32 v25, v110, v34
	s_wait_loadcnt 0x1
	v_fmac_f32_e32 v36, v110, v136
	scratch_load_b128 v[134:137], off, off offset:1696 ; 16-byte Folded Reload
	v_fmac_f32_e32 v69, v109, v59
	v_fmac_f32_e32 v171, v110, v70
	;; [unrolled: 1-line block ×3, first 2 shown]
	scratch_load_b32 v22, off, off offset:1972 ; 4-byte Folded Reload
	s_wait_loadcnt 0x1
	v_fmac_f32_e32 v38, v110, v136
	scratch_load_b128 v[134:137], off, off offset:1712 ; 16-byte Folded Reload
	v_fmac_f32_e32 v69, v110, v60
	v_fmac_f32_e32 v16, v110, v18
	scratch_load_b32 v18, off, off offset:1964 ; 4-byte Folded Reload
	s_wait_loadcnt 0x1
	v_fmac_f32_e32 v39, v110, v136
	scratch_load_b128 v[134:137], off, off offset:1728 ; 16-byte Folded Reload
	s_wait_loadcnt 0x0
	v_fmac_f32_e32 v41, v110, v136
	scratch_load_b128 v[134:137], off, off offset:1744 ; 16-byte Folded Reload
	;; [unrolled: 3-line block ×3, first 2 shown]
	v_fmac_f32_e32 v71, v110, v78
	s_wait_loadcnt 0x0
	v_fmac_f32_e32 v44, v110, v136
	scratch_load_b128 v[134:137], off, off offset:1776 ; 16-byte Folded Reload
	v_fmac_f32_e32 v99, v110, v118
	v_fmac_f32_e32 v156, v110, v161
	;; [unrolled: 1-line block ×3, first 2 shown]
	s_wait_loadcnt 0x0
	v_fmac_f32_e32 v51, v110, v136
	scratch_load_b128 v[134:137], off, off offset:1792 ; 16-byte Folded Reload
	s_wait_loadcnt 0x0
	v_fmac_f32_e32 v52, v110, v136
	scratch_load_b128 v[134:137], off, off offset:1808 ; 16-byte Folded Reload
	v_fmac_f32_e32 v73, v110, v103
	s_wait_loadcnt 0x0
	v_fmac_f32_e32 v64, v110, v136
	scratch_load_b128 v[134:137], off, off offset:1824 ; 16-byte Folded Reload
	v_fmac_f32_e32 v61, v110, v106
	v_fmac_f32_e32 v0, v110, v2
	s_wait_loadcnt 0x0
	v_fmac_f32_e32 v65, v110, v136
	scratch_load_b128 v[134:137], off, off offset:1840 ; 16-byte Folded Reload
	s_wait_loadcnt 0x0
	v_fmac_f32_e32 v67, v110, v136
	scratch_load_b128 v[134:137], off, off offset:1856 ; 16-byte Folded Reload
	;; [unrolled: 3-line block ×3, first 2 shown]
	v_dual_fmac_f32 v162, v109, v172 :: v_dual_fmac_f32 v105, v110, v115
	s_delay_alu instid0(VALU_DEP_1)
	v_fmac_f32_e32 v162, v110, v173
	v_fmac_f32_e32 v13, v110, v43
	s_wait_loadcnt 0x0
	v_fmac_f32_e32 v77, v110, v136
	s_clause 0x2
	scratch_load_b128 v[134:137], off, off offset:1888
	scratch_load_b32 v2, off, off offset:1936
	scratch_load_b64 v[53:54], off, off offset:1980 th:TH_LOAD_LU
	s_wait_loadcnt 0x2
	v_fmac_f32_e32 v63, v110, v136
	s_wait_loadcnt 0x0
	v_lshlrev_b64_e32 v[53:54], 4, v[53:54]
	s_delay_alu instid0(VALU_DEP_1) | instskip(SKIP_1) | instid1(VALU_DEP_2)
	v_add_co_u32 v53, vcc_lo, s6, v53
	s_wait_alu 0xfffd
	v_add_co_ci_u32_e64 v54, null, s7, v54, vcc_lo
	global_load_b128 v[132:135], v[53:54], off
	s_clause 0x7
	scratch_load_b128 v[128:131], off, off
	scratch_load_b128 v[124:127], off, off offset:16
	scratch_load_b128 v[120:123], off, off offset:32
	;; [unrolled: 1-line block ×7, first 2 shown]
	s_wait_loadcnt 0x8
	v_readfirstlane_b32 s16, v134
	v_readfirstlane_b32 s0, v132
	s_cmp_gt_f32 s16, 0
	s_cselect_b32 s17, -1, 0
	s_cmp_eq_u32 s0, 0x46
	s_cselect_b32 s18, -1, 0
	s_cmp_eq_u32 s0, 0x45
	s_cselect_b32 s19, -1, 0
	s_cmp_lt_f32 s16, 0
	s_cselect_b32 s21, -1, 0
	s_wait_alu 0xfffe
	s_and_b32 s0, s21, exec_lo
	s_cselect_b32 s22, 0x40b00000, 1.0
	s_cselect_b32 s23, 1.0, 0xff7fffff
	s_xor_b32 s25, s16, 0x80000000
.LBB5_28:                               ;   Parent Loop BB5_27 Depth=1
                                        ; =>  This Inner Loop Header: Depth=2
	global_load_b128 v[144:147], v4, s[14:15] offset:-8
	s_add_nc_u64 s[14:15], s[14:15], 16
	s_wait_loadcnt 0x0
	v_ashrrev_i32_e32 v54, 31, v147
	v_dual_mov_b32 v53, v147 :: v_dual_sub_f32 v134, v33, v146
	s_delay_alu instid0(VALU_DEP_1) | instskip(NEXT) | instid1(VALU_DEP_1)
	v_lshlrev_b64_e32 v[53:54], 4, v[53:54]
	v_add_co_u32 v53, vcc_lo, s6, v53
	s_wait_alu 0xfffd
	s_delay_alu instid0(VALU_DEP_2)
	v_add_co_ci_u32_e64 v54, null, s7, v54, vcc_lo
	global_load_b128 v[56:59], v[53:54], off
	s_wait_loadcnt 0x0
	v_add_f32_e32 v132, v133, v57
	v_readfirstlane_b32 s0, v56
	v_readfirstlane_b32 s28, v58
	s_delay_alu instid0(VALU_DEP_3) | instskip(SKIP_1) | instid1(VALU_DEP_3)
	v_div_scale_f32 v53, null, v132, v132, 1.0
	s_wait_alu 0xfffe
	s_cmp_eq_u32 s0, 0x46
	s_cselect_b32 s26, -1, 0
	s_delay_alu instid0(VALU_DEP_1)
	v_xor_b32_e32 v54, 0x80000000, v53
	v_rcp_f32_e32 v53, v53
	s_wait_alu 0xfffe
	s_and_b32 s26, s26, s18
	s_wait_alu 0xfffe
	s_and_b32 s26, s26, exec_lo
	s_cselect_b32 s30, 4.0, 2.0
	s_cselect_b32 s31, 0x3e800000, 0.5
	s_cmp_eq_u32 s0, 0x45
	s_cselect_b32 s0, -1, 0
	s_delay_alu instid0(TRANS32_DEP_1) | instskip(SKIP_3) | instid1(VALU_DEP_1)
	v_fma_f32 v55, v54, v53, 1.0
	s_wait_alu 0xfffe
	s_or_b32 s29, s0, s19
	s_cmp_gt_f32 s28, 0
	v_fmac_f32_e32 v53, v55, v53
	v_div_scale_f32 v55, vcc_lo, 1.0, v132, 1.0
	s_cselect_b32 s0, -1, 0
	s_cmp_neq_f32 s28, 0
	v_mul_f32_e32 v56, v55, v53
	s_cselect_b32 s26, -1, 0
	s_cmp_lt_f32 s28, 0
	s_delay_alu instid0(VALU_DEP_1) | instskip(SKIP_1) | instid1(SALU_CYCLE_1)
	v_fma_f32 v57, v54, v56, v55
	s_cselect_b32 s33, -1, 0
	s_and_b32 s27, s33, exec_lo
	s_delay_alu instid0(VALU_DEP_1)
	v_fmac_f32_e32 v56, v57, v53
	s_cselect_b32 s27, s22, s23
	s_and_b32 s33, s33, s17
	s_xor_b32 s34, s28, 0x80000000
	s_and_b32 s33, s33, exec_lo
	v_fmac_f32_e32 v55, v54, v56
	s_cselect_b32 s28, s34, s28
	s_wait_alu 0xfffe
	s_and_b32 s0, s0, s21
	s_wait_alu 0xfffe
	s_and_b32 s0, s0, exec_lo
	s_wait_alu 0xfffd
	v_div_fmas_f32 v53, v55, v53, v56
	s_cselect_b32 s0, s25, s16
	s_add_co_i32 s20, s20, -1
	s_wait_alu 0xfffe
	s_add_f32 s28, s28, s0
	v_div_fixup_f32 v55, v53, v132, 1.0
	v_div_scale_f32 v53, null, s27, s27, 1.0
	s_delay_alu instid0(VALU_DEP_1) | instskip(SKIP_1) | instid1(TRANS32_DEP_1)
	v_xor_b32_e32 v54, 0x80000000, v53
	v_rcp_f32_e32 v53, v53
	v_fma_f32 v56, v54, v53, 1.0
	s_delay_alu instid0(VALU_DEP_1) | instskip(SKIP_1) | instid1(VALU_DEP_1)
	v_fmac_f32_e32 v53, v56, v53
	v_div_scale_f32 v56, vcc_lo, 1.0, s27, 1.0
	v_mul_f32_e32 v57, v56, v53
	s_delay_alu instid0(VALU_DEP_1) | instskip(NEXT) | instid1(VALU_DEP_1)
	v_fma_f32 v58, v54, v57, v56
	v_fmac_f32_e32 v57, v58, v53
	v_sub_f32_e32 v58, v38, v146
	s_delay_alu instid0(VALU_DEP_2) | instskip(SKIP_2) | instid1(VALU_DEP_2)
	v_fmac_f32_e32 v56, v54, v57
	v_mul_f32_e32 v54, v135, v59
	s_wait_alu 0xfffd
	v_div_fmas_f32 v53, v56, v53, v57
	v_dual_sub_f32 v57, v36, v145 :: v_dual_sub_f32 v56, v35, v144
	s_delay_alu instid0(VALU_DEP_2) | instskip(NEXT) | instid1(VALU_DEP_2)
	v_div_fixup_f32 v53, v53, s27, 1.0
	v_mul_f32_e32 v57, v57, v57
	s_delay_alu instid0(VALU_DEP_1) | instskip(NEXT) | instid1(VALU_DEP_1)
	v_fmac_f32_e32 v57, v56, v56
	v_fmac_f32_e32 v57, v58, v58
	s_delay_alu instid0(VALU_DEP_1) | instskip(SKIP_2) | instid1(VALU_DEP_1)
	v_cmp_gt_f32_e32 vcc_lo, 0xf800000, v57
	v_mul_f32_e32 v56, 0x4f800000, v57
	s_wait_alu 0xfffd
	v_cndmask_b32_e32 v56, v57, v56, vcc_lo
	s_delay_alu instid0(VALU_DEP_1) | instskip(NEXT) | instid1(TRANS32_DEP_1)
	v_sqrt_f32_e32 v57, v56
	v_add_nc_u32_e32 v58, -1, v57
	s_delay_alu instid0(VALU_DEP_1) | instskip(NEXT) | instid1(VALU_DEP_1)
	v_fma_f32 v59, -v58, v57, v56
	v_cmp_ge_f32_e64 s0, 0, v59
	v_add_nc_u32_e32 v59, 1, v57
	s_wait_alu 0xf1ff
	s_delay_alu instid0(VALU_DEP_2) | instskip(NEXT) | instid1(VALU_DEP_2)
	v_cndmask_b32_e64 v58, v57, v58, s0
	v_fma_f32 v57, -v59, v57, v56
	s_delay_alu instid0(VALU_DEP_1) | instskip(SKIP_1) | instid1(VALU_DEP_1)
	v_cmp_lt_f32_e64 s0, 0, v57
	s_wait_alu 0xf1ff
	v_cndmask_b32_e64 v57, v58, v59, s0
	s_delay_alu instid0(VALU_DEP_1) | instskip(NEXT) | instid1(VALU_DEP_1)
	v_mul_f32_e32 v58, 0x37800000, v57
	v_cndmask_b32_e32 v57, v57, v58, vcc_lo
	v_cmp_class_f32_e64 vcc_lo, v56, 0x260
	s_wait_alu 0xfffd
	s_delay_alu instid0(VALU_DEP_2) | instskip(NEXT) | instid1(VALU_DEP_1)
	v_cndmask_b32_e32 v56, v57, v56, vcc_lo
	v_sub_f32_e32 v57, v56, v132
	v_fma_f32 v56, -v55, v56, 1.0
	s_delay_alu instid0(VALU_DEP_2) | instskip(SKIP_3) | instid1(VALU_DEP_1)
	v_cmp_gt_f32_e32 vcc_lo, 0, v57
	v_cmp_gt_f32_e64 s0, s30, v57
	s_wait_alu 0xfffd
	v_cndmask_b32_e64 v58, 0, 0x42980000, vcc_lo
	v_fmac_f32_e32 v128, v56, v58
	v_fma_f32 v56, -s31, v57, 1.0
	s_wait_alu 0xf1ff
	v_cndmask_b32_e64 v58, 0, 1.0, s0
	v_cmp_gt_f32_e64 s0, s27, v57
	s_delay_alu instid0(VALU_DEP_3) | instskip(SKIP_1) | instid1(VALU_DEP_1)
	v_cndmask_b32_e64 v56, v56, 1.0, vcc_lo
	s_and_b32 s0, s26, s0
	v_mul_f32_e32 v56, v58, v56
	v_sub_f32_e32 v58, v42, v146
	s_delay_alu instid0(VALU_DEP_2) | instskip(NEXT) | instid1(VALU_DEP_1)
	v_mul_f32_e32 v56, v54, v56
	v_cndmask_b32_e64 v56, v56, -|v56|, s29
	s_delay_alu instid0(VALU_DEP_1) | instskip(SKIP_3) | instid1(VALU_DEP_2)
	v_fmac_f32_e32 v128, 0x42340000, v56
	v_fma_f32 v56, -v53, v57, 1.0
	s_wait_alu 0xfffe
	v_cndmask_b32_e64 v57, 0, 1.0, s0
	v_cndmask_b32_e64 v56, v56, 1.0, vcc_lo
	s_delay_alu instid0(VALU_DEP_2) | instskip(NEXT) | instid1(VALU_DEP_1)
	v_mul_f32_e32 v57, s28, v57
	v_fmac_f32_e32 v128, v56, v57
	v_dual_sub_f32 v56, v39, v144 :: v_dual_sub_f32 v57, v41, v145
	s_delay_alu instid0(VALU_DEP_1) | instskip(NEXT) | instid1(VALU_DEP_1)
	v_mul_f32_e32 v57, v57, v57
	v_fmac_f32_e32 v57, v56, v56
	s_delay_alu instid0(VALU_DEP_1) | instskip(NEXT) | instid1(VALU_DEP_1)
	v_fmac_f32_e32 v57, v58, v58
	v_cmp_gt_f32_e32 vcc_lo, 0xf800000, v57
	v_mul_f32_e32 v56, 0x4f800000, v57
	s_wait_alu 0xfffd
	s_delay_alu instid0(VALU_DEP_1) | instskip(NEXT) | instid1(VALU_DEP_1)
	v_cndmask_b32_e32 v56, v57, v56, vcc_lo
	v_sqrt_f32_e32 v57, v56
	s_delay_alu instid0(TRANS32_DEP_1) | instskip(NEXT) | instid1(VALU_DEP_1)
	v_add_nc_u32_e32 v58, -1, v57
	v_fma_f32 v59, -v58, v57, v56
	s_delay_alu instid0(VALU_DEP_1) | instskip(SKIP_2) | instid1(VALU_DEP_2)
	v_cmp_ge_f32_e64 s0, 0, v59
	v_add_nc_u32_e32 v59, 1, v57
	s_wait_alu 0xf1ff
	v_cndmask_b32_e64 v58, v57, v58, s0
	s_delay_alu instid0(VALU_DEP_2) | instskip(NEXT) | instid1(VALU_DEP_1)
	v_fma_f32 v57, -v59, v57, v56
	v_cmp_lt_f32_e64 s0, 0, v57
	s_wait_alu 0xf1ff
	s_delay_alu instid0(VALU_DEP_1) | instskip(NEXT) | instid1(VALU_DEP_1)
	v_cndmask_b32_e64 v57, v58, v59, s0
	v_mul_f32_e32 v58, 0x37800000, v57
	s_delay_alu instid0(VALU_DEP_1) | instskip(SKIP_2) | instid1(VALU_DEP_2)
	v_cndmask_b32_e32 v57, v57, v58, vcc_lo
	v_cmp_class_f32_e64 vcc_lo, v56, 0x260
	s_wait_alu 0xfffd
	v_cndmask_b32_e32 v56, v57, v56, vcc_lo
	s_delay_alu instid0(VALU_DEP_1) | instskip(SKIP_1) | instid1(VALU_DEP_2)
	v_sub_f32_e32 v57, v56, v132
	v_fma_f32 v56, -v55, v56, 1.0
	v_cmp_gt_f32_e32 vcc_lo, 0, v57
	v_cmp_gt_f32_e64 s0, s30, v57
	s_wait_alu 0xfffd
	v_cndmask_b32_e64 v58, 0, 0x42980000, vcc_lo
	s_delay_alu instid0(VALU_DEP_1) | instskip(SKIP_4) | instid1(VALU_DEP_3)
	v_fmac_f32_e32 v129, v56, v58
	v_fma_f32 v56, -s31, v57, 1.0
	s_wait_alu 0xf1ff
	v_cndmask_b32_e64 v58, 0, 1.0, s0
	v_cmp_gt_f32_e64 s0, s27, v57
	v_cndmask_b32_e64 v56, v56, 1.0, vcc_lo
	s_and_b32 s0, s26, s0
	s_delay_alu instid0(VALU_DEP_1) | instskip(NEXT) | instid1(VALU_DEP_1)
	v_mul_f32_e32 v56, v58, v56
	v_mul_f32_e32 v56, v54, v56
	s_delay_alu instid0(VALU_DEP_1) | instskip(NEXT) | instid1(VALU_DEP_1)
	v_cndmask_b32_e64 v56, v56, -|v56|, s29
	v_fmac_f32_e32 v129, 0x42340000, v56
	v_fma_f32 v56, -v53, v57, 1.0
	s_wait_alu 0xfffe
	v_cndmask_b32_e64 v57, 0, 1.0, s0
	s_delay_alu instid0(VALU_DEP_2) | instskip(NEXT) | instid1(VALU_DEP_2)
	v_cndmask_b32_e64 v56, v56, 1.0, vcc_lo
	v_mul_f32_e32 v57, s28, v57
	s_delay_alu instid0(VALU_DEP_1) | instskip(SKIP_1) | instid1(VALU_DEP_1)
	v_fmac_f32_e32 v129, v56, v57
	v_dual_sub_f32 v56, v44, v144 :: v_dual_sub_f32 v57, v51, v145
	v_dual_sub_f32 v58, v52, v146 :: v_dual_mul_f32 v57, v57, v57
	s_delay_alu instid0(VALU_DEP_1) | instskip(NEXT) | instid1(VALU_DEP_1)
	v_fmac_f32_e32 v57, v56, v56
	v_fmac_f32_e32 v57, v58, v58
	s_delay_alu instid0(VALU_DEP_1) | instskip(SKIP_2) | instid1(VALU_DEP_1)
	v_cmp_gt_f32_e32 vcc_lo, 0xf800000, v57
	v_mul_f32_e32 v56, 0x4f800000, v57
	s_wait_alu 0xfffd
	v_cndmask_b32_e32 v56, v57, v56, vcc_lo
	s_delay_alu instid0(VALU_DEP_1) | instskip(NEXT) | instid1(TRANS32_DEP_1)
	v_sqrt_f32_e32 v57, v56
	v_add_nc_u32_e32 v58, -1, v57
	s_delay_alu instid0(VALU_DEP_1) | instskip(NEXT) | instid1(VALU_DEP_1)
	v_fma_f32 v59, -v58, v57, v56
	v_cmp_ge_f32_e64 s0, 0, v59
	v_add_nc_u32_e32 v59, 1, v57
	s_wait_alu 0xf1ff
	s_delay_alu instid0(VALU_DEP_2) | instskip(NEXT) | instid1(VALU_DEP_2)
	v_cndmask_b32_e64 v58, v57, v58, s0
	v_fma_f32 v57, -v59, v57, v56
	s_delay_alu instid0(VALU_DEP_1) | instskip(SKIP_1) | instid1(VALU_DEP_1)
	v_cmp_lt_f32_e64 s0, 0, v57
	s_wait_alu 0xf1ff
	v_cndmask_b32_e64 v57, v58, v59, s0
	s_delay_alu instid0(VALU_DEP_1) | instskip(NEXT) | instid1(VALU_DEP_1)
	v_mul_f32_e32 v58, 0x37800000, v57
	v_cndmask_b32_e32 v57, v57, v58, vcc_lo
	v_cmp_class_f32_e64 vcc_lo, v56, 0x260
	s_wait_alu 0xfffd
	s_delay_alu instid0(VALU_DEP_2) | instskip(NEXT) | instid1(VALU_DEP_1)
	v_cndmask_b32_e32 v56, v57, v56, vcc_lo
	v_sub_f32_e32 v57, v56, v132
	v_fma_f32 v56, -v55, v56, 1.0
	s_delay_alu instid0(VALU_DEP_2) | instskip(SKIP_3) | instid1(VALU_DEP_1)
	v_cmp_gt_f32_e32 vcc_lo, 0, v57
	v_cmp_gt_f32_e64 s0, s30, v57
	s_wait_alu 0xfffd
	v_cndmask_b32_e64 v58, 0, 0x42980000, vcc_lo
	v_fmac_f32_e32 v130, v56, v58
	v_fma_f32 v56, -s31, v57, 1.0
	s_wait_alu 0xf1ff
	v_cndmask_b32_e64 v58, 0, 1.0, s0
	v_cmp_gt_f32_e64 s0, s27, v57
	s_delay_alu instid0(VALU_DEP_3) | instskip(SKIP_1) | instid1(VALU_DEP_1)
	v_cndmask_b32_e64 v56, v56, 1.0, vcc_lo
	s_and_b32 s0, s26, s0
	v_mul_f32_e32 v56, v58, v56
	v_sub_f32_e32 v58, v67, v146
	s_delay_alu instid0(VALU_DEP_2) | instskip(NEXT) | instid1(VALU_DEP_1)
	v_mul_f32_e32 v56, v54, v56
	v_cndmask_b32_e64 v56, v56, -|v56|, s29
	s_delay_alu instid0(VALU_DEP_1) | instskip(SKIP_3) | instid1(VALU_DEP_2)
	v_fmac_f32_e32 v130, 0x42340000, v56
	v_fma_f32 v56, -v53, v57, 1.0
	s_wait_alu 0xfffe
	v_cndmask_b32_e64 v57, 0, 1.0, s0
	v_cndmask_b32_e64 v56, v56, 1.0, vcc_lo
	s_delay_alu instid0(VALU_DEP_2) | instskip(NEXT) | instid1(VALU_DEP_1)
	v_mul_f32_e32 v57, s28, v57
	v_fmac_f32_e32 v130, v56, v57
	v_dual_sub_f32 v57, v65, v145 :: v_dual_sub_f32 v56, v64, v144
	s_delay_alu instid0(VALU_DEP_1) | instskip(NEXT) | instid1(VALU_DEP_1)
	v_mul_f32_e32 v57, v57, v57
	v_fmac_f32_e32 v57, v56, v56
	s_delay_alu instid0(VALU_DEP_1) | instskip(NEXT) | instid1(VALU_DEP_1)
	v_fmac_f32_e32 v57, v58, v58
	v_cmp_gt_f32_e32 vcc_lo, 0xf800000, v57
	v_mul_f32_e32 v56, 0x4f800000, v57
	s_wait_alu 0xfffd
	s_delay_alu instid0(VALU_DEP_1) | instskip(NEXT) | instid1(VALU_DEP_1)
	v_cndmask_b32_e32 v56, v57, v56, vcc_lo
	v_sqrt_f32_e32 v57, v56
	s_delay_alu instid0(TRANS32_DEP_1) | instskip(NEXT) | instid1(VALU_DEP_1)
	v_add_nc_u32_e32 v58, -1, v57
	v_fma_f32 v59, -v58, v57, v56
	s_delay_alu instid0(VALU_DEP_1) | instskip(SKIP_2) | instid1(VALU_DEP_2)
	v_cmp_ge_f32_e64 s0, 0, v59
	v_add_nc_u32_e32 v59, 1, v57
	s_wait_alu 0xf1ff
	v_cndmask_b32_e64 v58, v57, v58, s0
	s_delay_alu instid0(VALU_DEP_2) | instskip(NEXT) | instid1(VALU_DEP_1)
	v_fma_f32 v57, -v59, v57, v56
	v_cmp_lt_f32_e64 s0, 0, v57
	s_wait_alu 0xf1ff
	s_delay_alu instid0(VALU_DEP_1) | instskip(NEXT) | instid1(VALU_DEP_1)
	v_cndmask_b32_e64 v57, v58, v59, s0
	v_mul_f32_e32 v58, 0x37800000, v57
	s_delay_alu instid0(VALU_DEP_1) | instskip(SKIP_2) | instid1(VALU_DEP_2)
	v_cndmask_b32_e32 v57, v57, v58, vcc_lo
	v_cmp_class_f32_e64 vcc_lo, v56, 0x260
	s_wait_alu 0xfffd
	v_cndmask_b32_e32 v56, v57, v56, vcc_lo
	s_delay_alu instid0(VALU_DEP_1) | instskip(SKIP_1) | instid1(VALU_DEP_2)
	v_sub_f32_e32 v57, v56, v132
	v_fma_f32 v56, -v55, v56, 1.0
	v_cmp_gt_f32_e32 vcc_lo, 0, v57
	v_cmp_gt_f32_e64 s0, s30, v57
	s_wait_alu 0xfffd
	v_cndmask_b32_e64 v58, 0, 0x42980000, vcc_lo
	s_delay_alu instid0(VALU_DEP_1) | instskip(SKIP_4) | instid1(VALU_DEP_3)
	v_fmac_f32_e32 v131, v56, v58
	v_fma_f32 v56, -s31, v57, 1.0
	s_wait_alu 0xf1ff
	v_cndmask_b32_e64 v58, 0, 1.0, s0
	v_cmp_gt_f32_e64 s0, s27, v57
	v_cndmask_b32_e64 v56, v56, 1.0, vcc_lo
	s_and_b32 s0, s26, s0
	s_delay_alu instid0(VALU_DEP_1) | instskip(SKIP_1) | instid1(VALU_DEP_2)
	v_mul_f32_e32 v56, v58, v56
	v_sub_f32_e32 v58, v63, v146
	v_mul_f32_e32 v56, v54, v56
	s_delay_alu instid0(VALU_DEP_1) | instskip(NEXT) | instid1(VALU_DEP_1)
	v_cndmask_b32_e64 v56, v56, -|v56|, s29
	v_fmac_f32_e32 v131, 0x42340000, v56
	v_fma_f32 v56, -v53, v57, 1.0
	s_wait_alu 0xfffe
	v_cndmask_b32_e64 v57, 0, 1.0, s0
	s_delay_alu instid0(VALU_DEP_2) | instskip(NEXT) | instid1(VALU_DEP_2)
	v_cndmask_b32_e64 v56, v56, 1.0, vcc_lo
	v_mul_f32_e32 v57, s28, v57
	s_delay_alu instid0(VALU_DEP_1) | instskip(SKIP_1) | instid1(VALU_DEP_1)
	v_fmac_f32_e32 v131, v56, v57
	v_dual_sub_f32 v57, v77, v145 :: v_dual_sub_f32 v56, v76, v144
	v_mul_f32_e32 v57, v57, v57
	s_delay_alu instid0(VALU_DEP_1) | instskip(NEXT) | instid1(VALU_DEP_1)
	v_fmac_f32_e32 v57, v56, v56
	v_fmac_f32_e32 v57, v58, v58
	s_delay_alu instid0(VALU_DEP_1) | instskip(SKIP_2) | instid1(VALU_DEP_1)
	v_cmp_gt_f32_e32 vcc_lo, 0xf800000, v57
	v_mul_f32_e32 v56, 0x4f800000, v57
	s_wait_alu 0xfffd
	v_cndmask_b32_e32 v56, v57, v56, vcc_lo
	s_delay_alu instid0(VALU_DEP_1) | instskip(NEXT) | instid1(TRANS32_DEP_1)
	v_sqrt_f32_e32 v57, v56
	v_add_nc_u32_e32 v58, -1, v57
	s_delay_alu instid0(VALU_DEP_1) | instskip(NEXT) | instid1(VALU_DEP_1)
	v_fma_f32 v59, -v58, v57, v56
	v_cmp_ge_f32_e64 s0, 0, v59
	v_add_nc_u32_e32 v59, 1, v57
	s_wait_alu 0xf1ff
	s_delay_alu instid0(VALU_DEP_2) | instskip(NEXT) | instid1(VALU_DEP_2)
	v_cndmask_b32_e64 v58, v57, v58, s0
	v_fma_f32 v57, -v59, v57, v56
	s_delay_alu instid0(VALU_DEP_1) | instskip(SKIP_1) | instid1(VALU_DEP_1)
	v_cmp_lt_f32_e64 s0, 0, v57
	s_wait_alu 0xf1ff
	v_cndmask_b32_e64 v57, v58, v59, s0
	s_delay_alu instid0(VALU_DEP_1) | instskip(NEXT) | instid1(VALU_DEP_1)
	v_mul_f32_e32 v58, 0x37800000, v57
	v_cndmask_b32_e32 v57, v57, v58, vcc_lo
	v_cmp_class_f32_e64 vcc_lo, v56, 0x260
	s_wait_alu 0xfffd
	s_delay_alu instid0(VALU_DEP_2) | instskip(NEXT) | instid1(VALU_DEP_1)
	v_cndmask_b32_e32 v56, v57, v56, vcc_lo
	v_sub_f32_e32 v57, v56, v132
	v_fma_f32 v56, -v55, v56, 1.0
	s_delay_alu instid0(VALU_DEP_2) | instskip(SKIP_3) | instid1(VALU_DEP_1)
	v_cmp_gt_f32_e32 vcc_lo, 0, v57
	v_cmp_gt_f32_e64 s0, s30, v57
	s_wait_alu 0xfffd
	v_cndmask_b32_e64 v58, 0, 0x42980000, vcc_lo
	v_fmac_f32_e32 v124, v56, v58
	v_fma_f32 v56, -s31, v57, 1.0
	s_wait_alu 0xf1ff
	v_cndmask_b32_e64 v58, 0, 1.0, s0
	v_cmp_gt_f32_e64 s0, s27, v57
	s_delay_alu instid0(VALU_DEP_3) | instskip(SKIP_1) | instid1(VALU_DEP_1)
	v_cndmask_b32_e64 v56, v56, 1.0, vcc_lo
	s_and_b32 s0, s26, s0
	v_mul_f32_e32 v56, v58, v56
	v_sub_f32_e32 v58, v83, v146
	s_delay_alu instid0(VALU_DEP_2) | instskip(NEXT) | instid1(VALU_DEP_1)
	v_mul_f32_e32 v56, v54, v56
	v_cndmask_b32_e64 v56, v56, -|v56|, s29
	s_delay_alu instid0(VALU_DEP_1) | instskip(SKIP_3) | instid1(VALU_DEP_2)
	v_fmac_f32_e32 v124, 0x42340000, v56
	v_fma_f32 v56, -v53, v57, 1.0
	s_wait_alu 0xfffe
	v_cndmask_b32_e64 v57, 0, 1.0, s0
	v_cndmask_b32_e64 v56, v56, 1.0, vcc_lo
	s_delay_alu instid0(VALU_DEP_2) | instskip(NEXT) | instid1(VALU_DEP_1)
	v_mul_f32_e32 v57, s28, v57
	v_fmac_f32_e32 v124, v56, v57
	v_dual_sub_f32 v57, v81, v145 :: v_dual_sub_f32 v56, v79, v144
	s_delay_alu instid0(VALU_DEP_1) | instskip(NEXT) | instid1(VALU_DEP_1)
	v_mul_f32_e32 v57, v57, v57
	v_fmac_f32_e32 v57, v56, v56
	s_delay_alu instid0(VALU_DEP_1) | instskip(NEXT) | instid1(VALU_DEP_1)
	v_fmac_f32_e32 v57, v58, v58
	v_cmp_gt_f32_e32 vcc_lo, 0xf800000, v57
	v_mul_f32_e32 v56, 0x4f800000, v57
	s_wait_alu 0xfffd
	s_delay_alu instid0(VALU_DEP_1) | instskip(NEXT) | instid1(VALU_DEP_1)
	v_cndmask_b32_e32 v56, v57, v56, vcc_lo
	v_sqrt_f32_e32 v57, v56
	s_delay_alu instid0(TRANS32_DEP_1) | instskip(NEXT) | instid1(VALU_DEP_1)
	v_add_nc_u32_e32 v58, -1, v57
	v_fma_f32 v59, -v58, v57, v56
	s_delay_alu instid0(VALU_DEP_1) | instskip(SKIP_2) | instid1(VALU_DEP_2)
	v_cmp_ge_f32_e64 s0, 0, v59
	v_add_nc_u32_e32 v59, 1, v57
	s_wait_alu 0xf1ff
	v_cndmask_b32_e64 v58, v57, v58, s0
	s_delay_alu instid0(VALU_DEP_2) | instskip(NEXT) | instid1(VALU_DEP_1)
	v_fma_f32 v57, -v59, v57, v56
	v_cmp_lt_f32_e64 s0, 0, v57
	s_wait_alu 0xf1ff
	s_delay_alu instid0(VALU_DEP_1) | instskip(NEXT) | instid1(VALU_DEP_1)
	v_cndmask_b32_e64 v57, v58, v59, s0
	v_mul_f32_e32 v58, 0x37800000, v57
	s_delay_alu instid0(VALU_DEP_1) | instskip(SKIP_2) | instid1(VALU_DEP_2)
	v_cndmask_b32_e32 v57, v57, v58, vcc_lo
	v_cmp_class_f32_e64 vcc_lo, v56, 0x260
	s_wait_alu 0xfffd
	v_cndmask_b32_e32 v56, v57, v56, vcc_lo
	s_delay_alu instid0(VALU_DEP_1) | instskip(SKIP_1) | instid1(VALU_DEP_2)
	v_sub_f32_e32 v57, v56, v132
	v_fma_f32 v56, -v55, v56, 1.0
	v_cmp_gt_f32_e32 vcc_lo, 0, v57
	v_cmp_gt_f32_e64 s0, s30, v57
	s_wait_alu 0xfffd
	v_cndmask_b32_e64 v58, 0, 0x42980000, vcc_lo
	s_delay_alu instid0(VALU_DEP_1) | instskip(SKIP_4) | instid1(VALU_DEP_3)
	v_fmac_f32_e32 v125, v56, v58
	v_fma_f32 v56, -s31, v57, 1.0
	s_wait_alu 0xf1ff
	v_cndmask_b32_e64 v58, 0, 1.0, s0
	v_cmp_gt_f32_e64 s0, s27, v57
	v_cndmask_b32_e64 v56, v56, 1.0, vcc_lo
	s_and_b32 s0, s26, s0
	s_delay_alu instid0(VALU_DEP_1) | instskip(SKIP_1) | instid1(VALU_DEP_2)
	v_mul_f32_e32 v56, v58, v56
	v_sub_f32_e32 v58, v93, v146
	v_mul_f32_e32 v56, v54, v56
	s_delay_alu instid0(VALU_DEP_1) | instskip(NEXT) | instid1(VALU_DEP_1)
	v_cndmask_b32_e64 v56, v56, -|v56|, s29
	v_fmac_f32_e32 v125, 0x42340000, v56
	v_fma_f32 v56, -v53, v57, 1.0
	s_wait_alu 0xfffe
	v_cndmask_b32_e64 v57, 0, 1.0, s0
	s_delay_alu instid0(VALU_DEP_2) | instskip(NEXT) | instid1(VALU_DEP_2)
	v_cndmask_b32_e64 v56, v56, 1.0, vcc_lo
	v_mul_f32_e32 v57, s28, v57
	s_delay_alu instid0(VALU_DEP_1) | instskip(SKIP_1) | instid1(VALU_DEP_1)
	v_dual_fmac_f32 v125, v56, v57 :: v_dual_sub_f32 v56, v85, v144
	v_sub_f32_e32 v57, v87, v145
	v_mul_f32_e32 v57, v57, v57
	s_delay_alu instid0(VALU_DEP_1) | instskip(NEXT) | instid1(VALU_DEP_1)
	v_fmac_f32_e32 v57, v56, v56
	v_fmac_f32_e32 v57, v58, v58
	s_delay_alu instid0(VALU_DEP_1) | instskip(SKIP_2) | instid1(VALU_DEP_1)
	v_cmp_gt_f32_e32 vcc_lo, 0xf800000, v57
	v_mul_f32_e32 v56, 0x4f800000, v57
	s_wait_alu 0xfffd
	v_cndmask_b32_e32 v56, v57, v56, vcc_lo
	s_delay_alu instid0(VALU_DEP_1) | instskip(NEXT) | instid1(TRANS32_DEP_1)
	v_sqrt_f32_e32 v57, v56
	v_add_nc_u32_e32 v58, -1, v57
	s_delay_alu instid0(VALU_DEP_1) | instskip(NEXT) | instid1(VALU_DEP_1)
	v_fma_f32 v59, -v58, v57, v56
	v_cmp_ge_f32_e64 s0, 0, v59
	v_add_nc_u32_e32 v59, 1, v57
	s_wait_alu 0xf1ff
	s_delay_alu instid0(VALU_DEP_2) | instskip(NEXT) | instid1(VALU_DEP_2)
	v_cndmask_b32_e64 v58, v57, v58, s0
	v_fma_f32 v57, -v59, v57, v56
	s_delay_alu instid0(VALU_DEP_1) | instskip(SKIP_1) | instid1(VALU_DEP_1)
	v_cmp_lt_f32_e64 s0, 0, v57
	s_wait_alu 0xf1ff
	v_cndmask_b32_e64 v57, v58, v59, s0
	s_delay_alu instid0(VALU_DEP_1) | instskip(NEXT) | instid1(VALU_DEP_1)
	v_mul_f32_e32 v58, 0x37800000, v57
	v_cndmask_b32_e32 v57, v57, v58, vcc_lo
	v_cmp_class_f32_e64 vcc_lo, v56, 0x260
	s_wait_alu 0xfffd
	s_delay_alu instid0(VALU_DEP_2) | instskip(NEXT) | instid1(VALU_DEP_1)
	v_cndmask_b32_e32 v56, v57, v56, vcc_lo
	v_sub_f32_e32 v57, v56, v132
	v_fma_f32 v56, -v55, v56, 1.0
	s_delay_alu instid0(VALU_DEP_2) | instskip(SKIP_3) | instid1(VALU_DEP_1)
	v_cmp_gt_f32_e32 vcc_lo, 0, v57
	v_cmp_gt_f32_e64 s0, s30, v57
	s_wait_alu 0xfffd
	v_cndmask_b32_e64 v58, 0, 0x42980000, vcc_lo
	v_fmac_f32_e32 v126, v56, v58
	v_fma_f32 v56, -s31, v57, 1.0
	s_wait_alu 0xf1ff
	v_cndmask_b32_e64 v58, 0, 1.0, s0
	v_cmp_gt_f32_e64 s0, s27, v57
	s_delay_alu instid0(VALU_DEP_3) | instskip(SKIP_1) | instid1(VALU_DEP_1)
	v_cndmask_b32_e64 v56, v56, 1.0, vcc_lo
	s_and_b32 s0, s26, s0
	v_mul_f32_e32 v56, v58, v56
	v_sub_f32_e32 v58, v98, v146
	s_delay_alu instid0(VALU_DEP_2) | instskip(NEXT) | instid1(VALU_DEP_1)
	v_mul_f32_e32 v56, v54, v56
	v_cndmask_b32_e64 v56, v56, -|v56|, s29
	s_delay_alu instid0(VALU_DEP_1) | instskip(SKIP_3) | instid1(VALU_DEP_2)
	v_fmac_f32_e32 v126, 0x42340000, v56
	v_fma_f32 v56, -v53, v57, 1.0
	s_wait_alu 0xfffe
	v_cndmask_b32_e64 v57, 0, 1.0, s0
	v_cndmask_b32_e64 v56, v56, 1.0, vcc_lo
	s_delay_alu instid0(VALU_DEP_2) | instskip(NEXT) | instid1(VALU_DEP_1)
	v_mul_f32_e32 v57, s28, v57
	v_fmac_f32_e32 v126, v56, v57
	v_dual_sub_f32 v57, v96, v145 :: v_dual_sub_f32 v56, v95, v144
	s_delay_alu instid0(VALU_DEP_1) | instskip(NEXT) | instid1(VALU_DEP_1)
	v_mul_f32_e32 v57, v57, v57
	v_fmac_f32_e32 v57, v56, v56
	s_delay_alu instid0(VALU_DEP_1) | instskip(NEXT) | instid1(VALU_DEP_1)
	v_fmac_f32_e32 v57, v58, v58
	v_cmp_gt_f32_e32 vcc_lo, 0xf800000, v57
	v_mul_f32_e32 v56, 0x4f800000, v57
	s_wait_alu 0xfffd
	s_delay_alu instid0(VALU_DEP_1) | instskip(NEXT) | instid1(VALU_DEP_1)
	v_cndmask_b32_e32 v56, v57, v56, vcc_lo
	v_sqrt_f32_e32 v57, v56
	s_delay_alu instid0(TRANS32_DEP_1) | instskip(NEXT) | instid1(VALU_DEP_1)
	v_add_nc_u32_e32 v58, -1, v57
	v_fma_f32 v59, -v58, v57, v56
	s_delay_alu instid0(VALU_DEP_1) | instskip(SKIP_2) | instid1(VALU_DEP_2)
	v_cmp_ge_f32_e64 s0, 0, v59
	v_add_nc_u32_e32 v59, 1, v57
	s_wait_alu 0xf1ff
	v_cndmask_b32_e64 v58, v57, v58, s0
	s_delay_alu instid0(VALU_DEP_2) | instskip(NEXT) | instid1(VALU_DEP_1)
	v_fma_f32 v57, -v59, v57, v56
	v_cmp_lt_f32_e64 s0, 0, v57
	s_wait_alu 0xf1ff
	s_delay_alu instid0(VALU_DEP_1) | instskip(NEXT) | instid1(VALU_DEP_1)
	v_cndmask_b32_e64 v57, v58, v59, s0
	v_mul_f32_e32 v58, 0x37800000, v57
	s_delay_alu instid0(VALU_DEP_1) | instskip(SKIP_2) | instid1(VALU_DEP_2)
	v_cndmask_b32_e32 v57, v57, v58, vcc_lo
	v_cmp_class_f32_e64 vcc_lo, v56, 0x260
	s_wait_alu 0xfffd
	v_cndmask_b32_e32 v56, v57, v56, vcc_lo
	s_delay_alu instid0(VALU_DEP_1) | instskip(SKIP_1) | instid1(VALU_DEP_2)
	v_sub_f32_e32 v57, v56, v132
	v_fma_f32 v56, -v55, v56, 1.0
	v_cmp_gt_f32_e32 vcc_lo, 0, v57
	v_cmp_gt_f32_e64 s0, s30, v57
	s_wait_alu 0xfffd
	v_cndmask_b32_e64 v58, 0, 0x42980000, vcc_lo
	s_delay_alu instid0(VALU_DEP_1) | instskip(SKIP_4) | instid1(VALU_DEP_3)
	v_fmac_f32_e32 v127, v56, v58
	v_fma_f32 v56, -s31, v57, 1.0
	s_wait_alu 0xf1ff
	v_cndmask_b32_e64 v58, 0, 1.0, s0
	v_cmp_gt_f32_e64 s0, s27, v57
	v_cndmask_b32_e64 v56, v56, 1.0, vcc_lo
	s_and_b32 s0, s26, s0
	s_delay_alu instid0(VALU_DEP_1) | instskip(SKIP_1) | instid1(VALU_DEP_2)
	v_mul_f32_e32 v56, v58, v56
	v_sub_f32_e32 v58, v102, v146
	v_mul_f32_e32 v56, v54, v56
	s_delay_alu instid0(VALU_DEP_1) | instskip(NEXT) | instid1(VALU_DEP_1)
	v_cndmask_b32_e64 v56, v56, -|v56|, s29
	v_fmac_f32_e32 v127, 0x42340000, v56
	v_fma_f32 v56, -v53, v57, 1.0
	s_wait_alu 0xfffe
	v_cndmask_b32_e64 v57, 0, 1.0, s0
	s_delay_alu instid0(VALU_DEP_2) | instskip(NEXT) | instid1(VALU_DEP_2)
	v_cndmask_b32_e64 v56, v56, 1.0, vcc_lo
	v_mul_f32_e32 v57, s28, v57
	s_delay_alu instid0(VALU_DEP_1) | instskip(SKIP_1) | instid1(VALU_DEP_1)
	v_fmac_f32_e32 v127, v56, v57
	v_dual_sub_f32 v57, v101, v145 :: v_dual_sub_f32 v56, v99, v144
	v_mul_f32_e32 v57, v57, v57
	s_delay_alu instid0(VALU_DEP_1) | instskip(NEXT) | instid1(VALU_DEP_1)
	v_fmac_f32_e32 v57, v56, v56
	v_fmac_f32_e32 v57, v58, v58
	s_delay_alu instid0(VALU_DEP_1) | instskip(SKIP_2) | instid1(VALU_DEP_1)
	v_cmp_gt_f32_e32 vcc_lo, 0xf800000, v57
	v_mul_f32_e32 v56, 0x4f800000, v57
	s_wait_alu 0xfffd
	v_cndmask_b32_e32 v56, v57, v56, vcc_lo
	s_delay_alu instid0(VALU_DEP_1) | instskip(NEXT) | instid1(TRANS32_DEP_1)
	v_sqrt_f32_e32 v57, v56
	v_add_nc_u32_e32 v58, -1, v57
	s_delay_alu instid0(VALU_DEP_1) | instskip(NEXT) | instid1(VALU_DEP_1)
	v_fma_f32 v59, -v58, v57, v56
	v_cmp_ge_f32_e64 s0, 0, v59
	v_add_nc_u32_e32 v59, 1, v57
	s_wait_alu 0xf1ff
	s_delay_alu instid0(VALU_DEP_2) | instskip(NEXT) | instid1(VALU_DEP_2)
	v_cndmask_b32_e64 v58, v57, v58, s0
	v_fma_f32 v57, -v59, v57, v56
	s_delay_alu instid0(VALU_DEP_1) | instskip(SKIP_1) | instid1(VALU_DEP_1)
	v_cmp_lt_f32_e64 s0, 0, v57
	s_wait_alu 0xf1ff
	v_cndmask_b32_e64 v57, v58, v59, s0
	s_delay_alu instid0(VALU_DEP_1) | instskip(NEXT) | instid1(VALU_DEP_1)
	v_mul_f32_e32 v58, 0x37800000, v57
	v_cndmask_b32_e32 v57, v57, v58, vcc_lo
	v_cmp_class_f32_e64 vcc_lo, v56, 0x260
	s_wait_alu 0xfffd
	s_delay_alu instid0(VALU_DEP_2) | instskip(NEXT) | instid1(VALU_DEP_1)
	v_cndmask_b32_e32 v56, v57, v56, vcc_lo
	v_sub_f32_e32 v57, v56, v132
	v_fma_f32 v56, -v55, v56, 1.0
	s_delay_alu instid0(VALU_DEP_2) | instskip(SKIP_3) | instid1(VALU_DEP_1)
	v_cmp_gt_f32_e32 vcc_lo, 0, v57
	v_cmp_gt_f32_e64 s0, s30, v57
	s_wait_alu 0xfffd
	v_cndmask_b32_e64 v58, 0, 0x42980000, vcc_lo
	v_fmac_f32_e32 v120, v56, v58
	v_fma_f32 v56, -s31, v57, 1.0
	s_wait_alu 0xf1ff
	v_cndmask_b32_e64 v58, 0, 1.0, s0
	v_cmp_gt_f32_e64 s0, s27, v57
	s_delay_alu instid0(VALU_DEP_3) | instskip(SKIP_1) | instid1(VALU_DEP_1)
	v_cndmask_b32_e64 v56, v56, 1.0, vcc_lo
	s_and_b32 s0, s26, s0
	v_mul_f32_e32 v56, v58, v56
	v_sub_f32_e32 v58, v107, v146
	s_delay_alu instid0(VALU_DEP_2) | instskip(NEXT) | instid1(VALU_DEP_1)
	v_mul_f32_e32 v56, v54, v56
	v_cndmask_b32_e64 v56, v56, -|v56|, s29
	s_delay_alu instid0(VALU_DEP_1) | instskip(SKIP_3) | instid1(VALU_DEP_2)
	v_fmac_f32_e32 v120, 0x42340000, v56
	v_fma_f32 v56, -v53, v57, 1.0
	s_wait_alu 0xfffe
	v_cndmask_b32_e64 v57, 0, 1.0, s0
	v_cndmask_b32_e64 v56, v56, 1.0, vcc_lo
	s_delay_alu instid0(VALU_DEP_2) | instskip(NEXT) | instid1(VALU_DEP_1)
	v_mul_f32_e32 v57, s28, v57
	v_fmac_f32_e32 v120, v56, v57
	v_dual_sub_f32 v57, v105, v145 :: v_dual_sub_f32 v56, v104, v144
	s_delay_alu instid0(VALU_DEP_1) | instskip(NEXT) | instid1(VALU_DEP_1)
	v_mul_f32_e32 v57, v57, v57
	v_fmac_f32_e32 v57, v56, v56
	s_delay_alu instid0(VALU_DEP_1) | instskip(NEXT) | instid1(VALU_DEP_1)
	v_fmac_f32_e32 v57, v58, v58
	v_cmp_gt_f32_e32 vcc_lo, 0xf800000, v57
	v_mul_f32_e32 v56, 0x4f800000, v57
	s_wait_alu 0xfffd
	s_delay_alu instid0(VALU_DEP_1) | instskip(NEXT) | instid1(VALU_DEP_1)
	v_cndmask_b32_e32 v56, v57, v56, vcc_lo
	v_sqrt_f32_e32 v57, v56
	s_delay_alu instid0(TRANS32_DEP_1) | instskip(NEXT) | instid1(VALU_DEP_1)
	v_add_nc_u32_e32 v58, -1, v57
	v_fma_f32 v59, -v58, v57, v56
	s_delay_alu instid0(VALU_DEP_1) | instskip(SKIP_2) | instid1(VALU_DEP_2)
	v_cmp_ge_f32_e64 s0, 0, v59
	v_add_nc_u32_e32 v59, 1, v57
	s_wait_alu 0xf1ff
	v_cndmask_b32_e64 v58, v57, v58, s0
	s_delay_alu instid0(VALU_DEP_2) | instskip(NEXT) | instid1(VALU_DEP_1)
	v_fma_f32 v57, -v59, v57, v56
	v_cmp_lt_f32_e64 s0, 0, v57
	s_wait_alu 0xf1ff
	s_delay_alu instid0(VALU_DEP_1) | instskip(NEXT) | instid1(VALU_DEP_1)
	v_cndmask_b32_e64 v57, v58, v59, s0
	v_mul_f32_e32 v58, 0x37800000, v57
	s_delay_alu instid0(VALU_DEP_1) | instskip(SKIP_2) | instid1(VALU_DEP_2)
	v_cndmask_b32_e32 v57, v57, v58, vcc_lo
	v_cmp_class_f32_e64 vcc_lo, v56, 0x260
	s_wait_alu 0xfffd
	v_cndmask_b32_e32 v56, v57, v56, vcc_lo
	s_delay_alu instid0(VALU_DEP_1) | instskip(SKIP_1) | instid1(VALU_DEP_2)
	v_sub_f32_e32 v57, v56, v132
	v_fma_f32 v56, -v55, v56, 1.0
	v_cmp_gt_f32_e32 vcc_lo, 0, v57
	v_cmp_gt_f32_e64 s0, s30, v57
	s_wait_alu 0xfffd
	v_cndmask_b32_e64 v58, 0, 0x42980000, vcc_lo
	s_delay_alu instid0(VALU_DEP_1) | instskip(SKIP_4) | instid1(VALU_DEP_3)
	v_fmac_f32_e32 v121, v56, v58
	v_fma_f32 v56, -s31, v57, 1.0
	s_wait_alu 0xf1ff
	v_cndmask_b32_e64 v58, 0, 1.0, s0
	v_cmp_gt_f32_e64 s0, s27, v57
	v_cndmask_b32_e64 v56, v56, 1.0, vcc_lo
	s_and_b32 s0, s26, s0
	s_delay_alu instid0(VALU_DEP_1) | instskip(SKIP_1) | instid1(VALU_DEP_2)
	v_mul_f32_e32 v56, v58, v56
	v_sub_f32_e32 v58, v154, v146
	v_mul_f32_e32 v56, v54, v56
	s_delay_alu instid0(VALU_DEP_1) | instskip(NEXT) | instid1(VALU_DEP_1)
	v_cndmask_b32_e64 v56, v56, -|v56|, s29
	v_fmac_f32_e32 v121, 0x42340000, v56
	v_fma_f32 v56, -v53, v57, 1.0
	s_wait_alu 0xfffe
	v_cndmask_b32_e64 v57, 0, 1.0, s0
	s_delay_alu instid0(VALU_DEP_2) | instskip(NEXT) | instid1(VALU_DEP_2)
	v_cndmask_b32_e64 v56, v56, 1.0, vcc_lo
	v_mul_f32_e32 v57, s28, v57
	s_delay_alu instid0(VALU_DEP_1) | instskip(SKIP_1) | instid1(VALU_DEP_1)
	v_fmac_f32_e32 v121, v56, v57
	v_dual_sub_f32 v57, v152, v145 :: v_dual_sub_f32 v56, v149, v144
	v_mul_f32_e32 v57, v57, v57
	s_delay_alu instid0(VALU_DEP_1) | instskip(NEXT) | instid1(VALU_DEP_1)
	v_fmac_f32_e32 v57, v56, v56
	v_fmac_f32_e32 v57, v58, v58
	s_delay_alu instid0(VALU_DEP_1) | instskip(SKIP_2) | instid1(VALU_DEP_1)
	v_cmp_gt_f32_e32 vcc_lo, 0xf800000, v57
	v_mul_f32_e32 v56, 0x4f800000, v57
	s_wait_alu 0xfffd
	v_cndmask_b32_e32 v56, v57, v56, vcc_lo
	s_delay_alu instid0(VALU_DEP_1) | instskip(NEXT) | instid1(TRANS32_DEP_1)
	v_sqrt_f32_e32 v57, v56
	v_add_nc_u32_e32 v58, -1, v57
	s_delay_alu instid0(VALU_DEP_1) | instskip(NEXT) | instid1(VALU_DEP_1)
	v_fma_f32 v59, -v58, v57, v56
	v_cmp_ge_f32_e64 s0, 0, v59
	v_add_nc_u32_e32 v59, 1, v57
	s_wait_alu 0xf1ff
	s_delay_alu instid0(VALU_DEP_2) | instskip(NEXT) | instid1(VALU_DEP_2)
	v_cndmask_b32_e64 v58, v57, v58, s0
	v_fma_f32 v57, -v59, v57, v56
	s_delay_alu instid0(VALU_DEP_1) | instskip(SKIP_1) | instid1(VALU_DEP_1)
	v_cmp_lt_f32_e64 s0, 0, v57
	s_wait_alu 0xf1ff
	v_cndmask_b32_e64 v57, v58, v59, s0
	s_delay_alu instid0(VALU_DEP_1) | instskip(NEXT) | instid1(VALU_DEP_1)
	v_mul_f32_e32 v58, 0x37800000, v57
	v_cndmask_b32_e32 v57, v57, v58, vcc_lo
	v_cmp_class_f32_e64 vcc_lo, v56, 0x260
	s_wait_alu 0xfffd
	s_delay_alu instid0(VALU_DEP_2) | instskip(NEXT) | instid1(VALU_DEP_1)
	v_cndmask_b32_e32 v56, v57, v56, vcc_lo
	v_sub_f32_e32 v57, v56, v132
	v_fma_f32 v56, -v55, v56, 1.0
	s_delay_alu instid0(VALU_DEP_2) | instskip(SKIP_3) | instid1(VALU_DEP_1)
	v_cmp_gt_f32_e32 vcc_lo, 0, v57
	v_cmp_gt_f32_e64 s0, s30, v57
	s_wait_alu 0xfffd
	v_cndmask_b32_e64 v58, 0, 0x42980000, vcc_lo
	v_fmac_f32_e32 v122, v56, v58
	v_fma_f32 v56, -s31, v57, 1.0
	s_wait_alu 0xf1ff
	v_cndmask_b32_e64 v58, 0, 1.0, s0
	v_cmp_gt_f32_e64 s0, s27, v57
	s_delay_alu instid0(VALU_DEP_3) | instskip(SKIP_1) | instid1(VALU_DEP_1)
	v_cndmask_b32_e64 v56, v56, 1.0, vcc_lo
	s_and_b32 s0, s26, s0
	v_mul_f32_e32 v56, v58, v56
	v_sub_f32_e32 v58, v159, v146
	s_delay_alu instid0(VALU_DEP_2) | instskip(NEXT) | instid1(VALU_DEP_1)
	v_mul_f32_e32 v56, v54, v56
	v_cndmask_b32_e64 v56, v56, -|v56|, s29
	s_delay_alu instid0(VALU_DEP_1) | instskip(SKIP_3) | instid1(VALU_DEP_2)
	v_fmac_f32_e32 v122, 0x42340000, v56
	v_fma_f32 v56, -v53, v57, 1.0
	s_wait_alu 0xfffe
	v_cndmask_b32_e64 v57, 0, 1.0, s0
	v_cndmask_b32_e64 v56, v56, 1.0, vcc_lo
	s_delay_alu instid0(VALU_DEP_2) | instskip(NEXT) | instid1(VALU_DEP_1)
	v_mul_f32_e32 v57, s28, v57
	v_fmac_f32_e32 v122, v56, v57
	v_dual_sub_f32 v57, v157, v145 :: v_dual_sub_f32 v56, v156, v144
	s_delay_alu instid0(VALU_DEP_1) | instskip(NEXT) | instid1(VALU_DEP_1)
	v_mul_f32_e32 v57, v57, v57
	v_fmac_f32_e32 v57, v56, v56
	s_delay_alu instid0(VALU_DEP_1) | instskip(NEXT) | instid1(VALU_DEP_1)
	v_fmac_f32_e32 v57, v58, v58
	v_cmp_gt_f32_e32 vcc_lo, 0xf800000, v57
	v_mul_f32_e32 v56, 0x4f800000, v57
	s_wait_alu 0xfffd
	s_delay_alu instid0(VALU_DEP_1) | instskip(NEXT) | instid1(VALU_DEP_1)
	v_cndmask_b32_e32 v56, v57, v56, vcc_lo
	v_sqrt_f32_e32 v57, v56
	s_delay_alu instid0(TRANS32_DEP_1) | instskip(NEXT) | instid1(VALU_DEP_1)
	v_add_nc_u32_e32 v58, -1, v57
	v_fma_f32 v59, -v58, v57, v56
	s_delay_alu instid0(VALU_DEP_1) | instskip(SKIP_2) | instid1(VALU_DEP_2)
	v_cmp_ge_f32_e64 s0, 0, v59
	v_add_nc_u32_e32 v59, 1, v57
	s_wait_alu 0xf1ff
	v_cndmask_b32_e64 v58, v57, v58, s0
	s_delay_alu instid0(VALU_DEP_2) | instskip(NEXT) | instid1(VALU_DEP_1)
	v_fma_f32 v57, -v59, v57, v56
	v_cmp_lt_f32_e64 s0, 0, v57
	s_wait_alu 0xf1ff
	s_delay_alu instid0(VALU_DEP_1) | instskip(NEXT) | instid1(VALU_DEP_1)
	v_cndmask_b32_e64 v57, v58, v59, s0
	v_mul_f32_e32 v58, 0x37800000, v57
	s_delay_alu instid0(VALU_DEP_1) | instskip(SKIP_2) | instid1(VALU_DEP_2)
	v_cndmask_b32_e32 v57, v57, v58, vcc_lo
	v_cmp_class_f32_e64 vcc_lo, v56, 0x260
	s_wait_alu 0xfffd
	v_cndmask_b32_e32 v56, v57, v56, vcc_lo
	s_delay_alu instid0(VALU_DEP_1) | instskip(SKIP_1) | instid1(VALU_DEP_2)
	v_sub_f32_e32 v57, v56, v132
	v_fma_f32 v56, -v55, v56, 1.0
	v_cmp_gt_f32_e32 vcc_lo, 0, v57
	v_cmp_gt_f32_e64 s0, s30, v57
	s_wait_alu 0xfffd
	v_cndmask_b32_e64 v58, 0, 0x42980000, vcc_lo
	s_delay_alu instid0(VALU_DEP_1) | instskip(SKIP_4) | instid1(VALU_DEP_3)
	v_fmac_f32_e32 v123, v56, v58
	v_fma_f32 v56, -s31, v57, 1.0
	s_wait_alu 0xf1ff
	v_cndmask_b32_e64 v58, 0, 1.0, s0
	v_cmp_gt_f32_e64 s0, s27, v57
	v_cndmask_b32_e64 v56, v56, 1.0, vcc_lo
	s_and_b32 s0, s26, s0
	s_delay_alu instid0(VALU_DEP_1) | instskip(SKIP_1) | instid1(VALU_DEP_2)
	v_mul_f32_e32 v56, v58, v56
	v_sub_f32_e32 v58, v163, v146
	v_mul_f32_e32 v56, v54, v56
	s_delay_alu instid0(VALU_DEP_1) | instskip(NEXT) | instid1(VALU_DEP_1)
	v_cndmask_b32_e64 v56, v56, -|v56|, s29
	v_fmac_f32_e32 v123, 0x42340000, v56
	v_fma_f32 v56, -v53, v57, 1.0
	s_wait_alu 0xfffe
	v_cndmask_b32_e64 v57, 0, 1.0, s0
	s_delay_alu instid0(VALU_DEP_2) | instskip(NEXT) | instid1(VALU_DEP_2)
	v_cndmask_b32_e64 v56, v56, 1.0, vcc_lo
	v_mul_f32_e32 v57, s28, v57
	s_delay_alu instid0(VALU_DEP_1) | instskip(SKIP_1) | instid1(VALU_DEP_1)
	v_fmac_f32_e32 v123, v56, v57
	v_dual_sub_f32 v57, v162, v145 :: v_dual_sub_f32 v56, v160, v144
	v_mul_f32_e32 v57, v57, v57
	s_delay_alu instid0(VALU_DEP_1) | instskip(NEXT) | instid1(VALU_DEP_1)
	v_fmac_f32_e32 v57, v56, v56
	v_fmac_f32_e32 v57, v58, v58
	s_delay_alu instid0(VALU_DEP_1) | instskip(SKIP_2) | instid1(VALU_DEP_1)
	v_cmp_gt_f32_e32 vcc_lo, 0xf800000, v57
	v_mul_f32_e32 v56, 0x4f800000, v57
	s_wait_alu 0xfffd
	v_cndmask_b32_e32 v56, v57, v56, vcc_lo
	s_delay_alu instid0(VALU_DEP_1) | instskip(NEXT) | instid1(TRANS32_DEP_1)
	v_sqrt_f32_e32 v57, v56
	v_add_nc_u32_e32 v58, -1, v57
	s_delay_alu instid0(VALU_DEP_1) | instskip(NEXT) | instid1(VALU_DEP_1)
	v_fma_f32 v59, -v58, v57, v56
	v_cmp_ge_f32_e64 s0, 0, v59
	v_add_nc_u32_e32 v59, 1, v57
	s_wait_alu 0xf1ff
	s_delay_alu instid0(VALU_DEP_2) | instskip(NEXT) | instid1(VALU_DEP_2)
	v_cndmask_b32_e64 v58, v57, v58, s0
	v_fma_f32 v57, -v59, v57, v56
	s_delay_alu instid0(VALU_DEP_1) | instskip(SKIP_1) | instid1(VALU_DEP_1)
	v_cmp_lt_f32_e64 s0, 0, v57
	s_wait_alu 0xf1ff
	v_cndmask_b32_e64 v57, v58, v59, s0
	s_delay_alu instid0(VALU_DEP_1) | instskip(NEXT) | instid1(VALU_DEP_1)
	v_mul_f32_e32 v58, 0x37800000, v57
	v_cndmask_b32_e32 v57, v57, v58, vcc_lo
	v_cmp_class_f32_e64 vcc_lo, v56, 0x260
	s_wait_alu 0xfffd
	s_delay_alu instid0(VALU_DEP_2) | instskip(NEXT) | instid1(VALU_DEP_1)
	v_cndmask_b32_e32 v56, v57, v56, vcc_lo
	v_sub_f32_e32 v57, v56, v132
	v_fma_f32 v56, -v55, v56, 1.0
	s_delay_alu instid0(VALU_DEP_2) | instskip(SKIP_3) | instid1(VALU_DEP_1)
	v_cmp_gt_f32_e32 vcc_lo, 0, v57
	v_cmp_gt_f32_e64 s0, s30, v57
	s_wait_alu 0xfffd
	v_cndmask_b32_e64 v58, 0, 0x42980000, vcc_lo
	v_fmac_f32_e32 v116, v56, v58
	v_fma_f32 v56, -s31, v57, 1.0
	s_wait_alu 0xf1ff
	v_cndmask_b32_e64 v58, 0, 1.0, s0
	v_cmp_gt_f32_e64 s0, s27, v57
	s_delay_alu instid0(VALU_DEP_3) | instskip(SKIP_1) | instid1(VALU_DEP_1)
	v_cndmask_b32_e64 v56, v56, 1.0, vcc_lo
	s_and_b32 s0, s26, s0
	v_mul_f32_e32 v56, v58, v56
	v_sub_f32_e32 v58, v168, v146
	s_delay_alu instid0(VALU_DEP_2) | instskip(NEXT) | instid1(VALU_DEP_1)
	v_mul_f32_e32 v56, v54, v56
	v_cndmask_b32_e64 v56, v56, -|v56|, s29
	s_delay_alu instid0(VALU_DEP_1) | instskip(SKIP_3) | instid1(VALU_DEP_2)
	v_fmac_f32_e32 v116, 0x42340000, v56
	v_fma_f32 v56, -v53, v57, 1.0
	s_wait_alu 0xfffe
	v_cndmask_b32_e64 v57, 0, 1.0, s0
	v_cndmask_b32_e64 v56, v56, 1.0, vcc_lo
	s_delay_alu instid0(VALU_DEP_2) | instskip(NEXT) | instid1(VALU_DEP_1)
	v_mul_f32_e32 v57, s28, v57
	v_fmac_f32_e32 v116, v56, v57
	v_dual_sub_f32 v57, v166, v145 :: v_dual_sub_f32 v56, v165, v144
	s_delay_alu instid0(VALU_DEP_1) | instskip(NEXT) | instid1(VALU_DEP_1)
	v_mul_f32_e32 v57, v57, v57
	v_fmac_f32_e32 v57, v56, v56
	s_delay_alu instid0(VALU_DEP_1) | instskip(NEXT) | instid1(VALU_DEP_1)
	v_fmac_f32_e32 v57, v58, v58
	v_cmp_gt_f32_e32 vcc_lo, 0xf800000, v57
	v_mul_f32_e32 v56, 0x4f800000, v57
	s_wait_alu 0xfffd
	s_delay_alu instid0(VALU_DEP_1) | instskip(NEXT) | instid1(VALU_DEP_1)
	v_cndmask_b32_e32 v56, v57, v56, vcc_lo
	v_sqrt_f32_e32 v57, v56
	s_delay_alu instid0(TRANS32_DEP_1) | instskip(NEXT) | instid1(VALU_DEP_1)
	v_add_nc_u32_e32 v58, -1, v57
	v_fma_f32 v59, -v58, v57, v56
	s_delay_alu instid0(VALU_DEP_1) | instskip(SKIP_2) | instid1(VALU_DEP_2)
	v_cmp_ge_f32_e64 s0, 0, v59
	v_add_nc_u32_e32 v59, 1, v57
	s_wait_alu 0xf1ff
	v_cndmask_b32_e64 v58, v57, v58, s0
	s_delay_alu instid0(VALU_DEP_2) | instskip(NEXT) | instid1(VALU_DEP_1)
	v_fma_f32 v57, -v59, v57, v56
	v_cmp_lt_f32_e64 s0, 0, v57
	s_wait_alu 0xf1ff
	s_delay_alu instid0(VALU_DEP_1) | instskip(NEXT) | instid1(VALU_DEP_1)
	v_cndmask_b32_e64 v57, v58, v59, s0
	v_mul_f32_e32 v58, 0x37800000, v57
	s_delay_alu instid0(VALU_DEP_1) | instskip(SKIP_2) | instid1(VALU_DEP_2)
	v_cndmask_b32_e32 v57, v57, v58, vcc_lo
	v_cmp_class_f32_e64 vcc_lo, v56, 0x260
	s_wait_alu 0xfffd
	v_cndmask_b32_e32 v56, v57, v56, vcc_lo
	s_delay_alu instid0(VALU_DEP_1) | instskip(SKIP_1) | instid1(VALU_DEP_2)
	v_sub_f32_e32 v57, v56, v132
	v_fma_f32 v56, -v55, v56, 1.0
	v_cmp_gt_f32_e32 vcc_lo, 0, v57
	v_cmp_gt_f32_e64 s0, s30, v57
	s_wait_alu 0xfffd
	v_cndmask_b32_e64 v58, 0, 0x42980000, vcc_lo
	s_delay_alu instid0(VALU_DEP_1) | instskip(SKIP_4) | instid1(VALU_DEP_3)
	v_fmac_f32_e32 v117, v56, v58
	v_fma_f32 v56, -s31, v57, 1.0
	s_wait_alu 0xf1ff
	v_cndmask_b32_e64 v58, 0, 1.0, s0
	v_cmp_gt_f32_e64 s0, s27, v57
	v_cndmask_b32_e64 v56, v56, 1.0, vcc_lo
	s_and_b32 s0, s26, s0
	s_delay_alu instid0(VALU_DEP_1) | instskip(SKIP_1) | instid1(VALU_DEP_2)
	v_mul_f32_e32 v56, v58, v56
	v_sub_f32_e32 v58, v91, v146
	v_mul_f32_e32 v56, v54, v56
	s_delay_alu instid0(VALU_DEP_1) | instskip(NEXT) | instid1(VALU_DEP_1)
	v_cndmask_b32_e64 v56, v56, -|v56|, s29
	v_fmac_f32_e32 v117, 0x42340000, v56
	v_fma_f32 v56, -v53, v57, 1.0
	s_wait_alu 0xfffe
	v_cndmask_b32_e64 v57, 0, 1.0, s0
	s_delay_alu instid0(VALU_DEP_2) | instskip(NEXT) | instid1(VALU_DEP_2)
	v_cndmask_b32_e64 v56, v56, 1.0, vcc_lo
	v_mul_f32_e32 v57, s28, v57
	s_delay_alu instid0(VALU_DEP_1) | instskip(SKIP_1) | instid1(VALU_DEP_1)
	v_dual_fmac_f32 v117, v56, v57 :: v_dual_sub_f32 v56, v169, v144
	v_sub_f32_e32 v57, v92, v145
	v_mul_f32_e32 v57, v57, v57
	s_delay_alu instid0(VALU_DEP_1) | instskip(NEXT) | instid1(VALU_DEP_1)
	v_fmac_f32_e32 v57, v56, v56
	v_fmac_f32_e32 v57, v58, v58
	s_delay_alu instid0(VALU_DEP_1) | instskip(SKIP_2) | instid1(VALU_DEP_1)
	v_cmp_gt_f32_e32 vcc_lo, 0xf800000, v57
	v_mul_f32_e32 v56, 0x4f800000, v57
	s_wait_alu 0xfffd
	v_cndmask_b32_e32 v56, v57, v56, vcc_lo
	s_delay_alu instid0(VALU_DEP_1) | instskip(NEXT) | instid1(TRANS32_DEP_1)
	v_sqrt_f32_e32 v57, v56
	v_add_nc_u32_e32 v58, -1, v57
	s_delay_alu instid0(VALU_DEP_1) | instskip(NEXT) | instid1(VALU_DEP_1)
	v_fma_f32 v59, -v58, v57, v56
	v_cmp_ge_f32_e64 s0, 0, v59
	v_add_nc_u32_e32 v59, 1, v57
	s_wait_alu 0xf1ff
	s_delay_alu instid0(VALU_DEP_2) | instskip(NEXT) | instid1(VALU_DEP_2)
	v_cndmask_b32_e64 v58, v57, v58, s0
	v_fma_f32 v57, -v59, v57, v56
	s_delay_alu instid0(VALU_DEP_1) | instskip(SKIP_1) | instid1(VALU_DEP_1)
	v_cmp_lt_f32_e64 s0, 0, v57
	s_wait_alu 0xf1ff
	v_cndmask_b32_e64 v57, v58, v59, s0
	s_delay_alu instid0(VALU_DEP_1) | instskip(NEXT) | instid1(VALU_DEP_1)
	v_mul_f32_e32 v58, 0x37800000, v57
	v_cndmask_b32_e32 v57, v57, v58, vcc_lo
	v_cmp_class_f32_e64 vcc_lo, v56, 0x260
	s_wait_alu 0xfffd
	s_delay_alu instid0(VALU_DEP_2) | instskip(NEXT) | instid1(VALU_DEP_1)
	v_cndmask_b32_e32 v56, v57, v56, vcc_lo
	v_sub_f32_e32 v57, v56, v132
	v_fma_f32 v56, -v55, v56, 1.0
	s_delay_alu instid0(VALU_DEP_2) | instskip(SKIP_3) | instid1(VALU_DEP_1)
	v_cmp_gt_f32_e32 vcc_lo, 0, v57
	v_cmp_gt_f32_e64 s0, s30, v57
	s_wait_alu 0xfffd
	v_cndmask_b32_e64 v58, 0, 0x42980000, vcc_lo
	v_fmac_f32_e32 v118, v56, v58
	v_fma_f32 v56, -s31, v57, 1.0
	s_wait_alu 0xf1ff
	v_cndmask_b32_e64 v58, 0, 1.0, s0
	v_cmp_gt_f32_e64 s0, s27, v57
	s_delay_alu instid0(VALU_DEP_3) | instskip(SKIP_1) | instid1(VALU_DEP_1)
	v_cndmask_b32_e64 v56, v56, 1.0, vcc_lo
	s_and_b32 s0, s26, s0
	v_mul_f32_e32 v56, v58, v56
	v_sub_f32_e32 v58, v84, v146
	s_delay_alu instid0(VALU_DEP_2) | instskip(NEXT) | instid1(VALU_DEP_1)
	v_mul_f32_e32 v56, v54, v56
	v_cndmask_b32_e64 v56, v56, -|v56|, s29
	s_delay_alu instid0(VALU_DEP_1) | instskip(SKIP_3) | instid1(VALU_DEP_2)
	v_fmac_f32_e32 v118, 0x42340000, v56
	v_fma_f32 v56, -v53, v57, 1.0
	s_wait_alu 0xfffe
	v_cndmask_b32_e64 v57, 0, 1.0, s0
	v_cndmask_b32_e64 v56, v56, 1.0, vcc_lo
	s_delay_alu instid0(VALU_DEP_2) | instskip(NEXT) | instid1(VALU_DEP_1)
	v_mul_f32_e32 v57, s28, v57
	v_fmac_f32_e32 v118, v56, v57
	v_sub_f32_e32 v57, v153, v145
	v_sub_f32_e32 v56, v89, v144
	s_delay_alu instid0(VALU_DEP_2) | instskip(NEXT) | instid1(VALU_DEP_1)
	v_mul_f32_e32 v57, v57, v57
	v_fmac_f32_e32 v57, v56, v56
	s_delay_alu instid0(VALU_DEP_1) | instskip(NEXT) | instid1(VALU_DEP_1)
	v_fmac_f32_e32 v57, v58, v58
	v_cmp_gt_f32_e32 vcc_lo, 0xf800000, v57
	v_mul_f32_e32 v56, 0x4f800000, v57
	s_wait_alu 0xfffd
	s_delay_alu instid0(VALU_DEP_1) | instskip(NEXT) | instid1(VALU_DEP_1)
	v_cndmask_b32_e32 v56, v57, v56, vcc_lo
	v_sqrt_f32_e32 v57, v56
	s_delay_alu instid0(TRANS32_DEP_1) | instskip(NEXT) | instid1(VALU_DEP_1)
	v_add_nc_u32_e32 v58, -1, v57
	v_fma_f32 v59, -v58, v57, v56
	s_delay_alu instid0(VALU_DEP_1) | instskip(SKIP_2) | instid1(VALU_DEP_2)
	v_cmp_ge_f32_e64 s0, 0, v59
	v_add_nc_u32_e32 v59, 1, v57
	s_wait_alu 0xf1ff
	v_cndmask_b32_e64 v58, v57, v58, s0
	s_delay_alu instid0(VALU_DEP_2) | instskip(NEXT) | instid1(VALU_DEP_1)
	v_fma_f32 v57, -v59, v57, v56
	v_cmp_lt_f32_e64 s0, 0, v57
	s_wait_alu 0xf1ff
	s_delay_alu instid0(VALU_DEP_1) | instskip(NEXT) | instid1(VALU_DEP_1)
	v_cndmask_b32_e64 v57, v58, v59, s0
	v_mul_f32_e32 v58, 0x37800000, v57
	s_delay_alu instid0(VALU_DEP_1) | instskip(SKIP_2) | instid1(VALU_DEP_2)
	v_cndmask_b32_e32 v57, v57, v58, vcc_lo
	v_cmp_class_f32_e64 vcc_lo, v56, 0x260
	s_wait_alu 0xfffd
	v_cndmask_b32_e32 v56, v57, v56, vcc_lo
	s_delay_alu instid0(VALU_DEP_1) | instskip(SKIP_1) | instid1(VALU_DEP_2)
	v_sub_f32_e32 v57, v56, v132
	v_fma_f32 v56, -v55, v56, 1.0
	v_cmp_gt_f32_e32 vcc_lo, 0, v57
	v_cmp_gt_f32_e64 s0, s30, v57
	s_wait_alu 0xfffd
	v_cndmask_b32_e64 v58, 0, 0x42980000, vcc_lo
	s_delay_alu instid0(VALU_DEP_1) | instskip(SKIP_4) | instid1(VALU_DEP_3)
	v_fmac_f32_e32 v119, v56, v58
	v_fma_f32 v56, -s31, v57, 1.0
	s_wait_alu 0xf1ff
	v_cndmask_b32_e64 v58, 0, 1.0, s0
	v_cmp_gt_f32_e64 s0, s27, v57
	v_cndmask_b32_e64 v56, v56, 1.0, vcc_lo
	s_and_b32 s0, s26, s0
	s_delay_alu instid0(VALU_DEP_1) | instskip(SKIP_1) | instid1(VALU_DEP_2)
	v_mul_f32_e32 v56, v58, v56
	v_sub_f32_e32 v58, v151, v146
	v_mul_f32_e32 v56, v54, v56
	s_delay_alu instid0(VALU_DEP_1) | instskip(NEXT) | instid1(VALU_DEP_1)
	v_cndmask_b32_e64 v56, v56, -|v56|, s29
	v_fmac_f32_e32 v119, 0x42340000, v56
	v_fma_f32 v56, -v53, v57, 1.0
	s_wait_alu 0xfffe
	v_cndmask_b32_e64 v57, 0, 1.0, s0
	s_delay_alu instid0(VALU_DEP_2) | instskip(NEXT) | instid1(VALU_DEP_2)
	v_cndmask_b32_e64 v56, v56, 1.0, vcc_lo
	v_mul_f32_e32 v57, s28, v57
	s_delay_alu instid0(VALU_DEP_1) | instskip(SKIP_1) | instid1(VALU_DEP_1)
	v_fmac_f32_e32 v119, v56, v57
	v_dual_sub_f32 v57, v150, v145 :: v_dual_sub_f32 v56, v148, v144
	v_mul_f32_e32 v57, v57, v57
	s_delay_alu instid0(VALU_DEP_1) | instskip(NEXT) | instid1(VALU_DEP_1)
	v_fmac_f32_e32 v57, v56, v56
	v_fmac_f32_e32 v57, v58, v58
	s_delay_alu instid0(VALU_DEP_1) | instskip(SKIP_2) | instid1(VALU_DEP_1)
	v_cmp_gt_f32_e32 vcc_lo, 0xf800000, v57
	v_mul_f32_e32 v56, 0x4f800000, v57
	s_wait_alu 0xfffd
	v_cndmask_b32_e32 v56, v57, v56, vcc_lo
	s_delay_alu instid0(VALU_DEP_1) | instskip(NEXT) | instid1(TRANS32_DEP_1)
	v_sqrt_f32_e32 v57, v56
	v_add_nc_u32_e32 v58, -1, v57
	s_delay_alu instid0(VALU_DEP_1) | instskip(NEXT) | instid1(VALU_DEP_1)
	v_fma_f32 v59, -v58, v57, v56
	v_cmp_ge_f32_e64 s0, 0, v59
	v_add_nc_u32_e32 v59, 1, v57
	s_wait_alu 0xf1ff
	s_delay_alu instid0(VALU_DEP_2) | instskip(NEXT) | instid1(VALU_DEP_2)
	v_cndmask_b32_e64 v58, v57, v58, s0
	v_fma_f32 v57, -v59, v57, v56
	s_delay_alu instid0(VALU_DEP_1) | instskip(SKIP_1) | instid1(VALU_DEP_1)
	v_cmp_lt_f32_e64 s0, 0, v57
	s_wait_alu 0xf1ff
	v_cndmask_b32_e64 v57, v58, v59, s0
	s_delay_alu instid0(VALU_DEP_1) | instskip(NEXT) | instid1(VALU_DEP_1)
	v_mul_f32_e32 v58, 0x37800000, v57
	v_cndmask_b32_e32 v57, v57, v58, vcc_lo
	v_cmp_class_f32_e64 vcc_lo, v56, 0x260
	s_wait_alu 0xfffd
	s_delay_alu instid0(VALU_DEP_2) | instskip(NEXT) | instid1(VALU_DEP_1)
	v_cndmask_b32_e32 v56, v57, v56, vcc_lo
	v_sub_f32_e32 v57, v56, v132
	v_fma_f32 v56, -v55, v56, 1.0
	s_delay_alu instid0(VALU_DEP_2) | instskip(SKIP_3) | instid1(VALU_DEP_1)
	v_cmp_gt_f32_e32 vcc_lo, 0, v57
	v_cmp_gt_f32_e64 s0, s30, v57
	s_wait_alu 0xfffd
	v_cndmask_b32_e64 v58, 0, 0x42980000, vcc_lo
	v_fmac_f32_e32 v112, v56, v58
	v_fma_f32 v56, -s31, v57, 1.0
	s_wait_alu 0xf1ff
	v_cndmask_b32_e64 v58, 0, 1.0, s0
	v_cmp_gt_f32_e64 s0, s27, v57
	s_delay_alu instid0(VALU_DEP_3) | instskip(SKIP_1) | instid1(VALU_DEP_1)
	v_cndmask_b32_e64 v56, v56, 1.0, vcc_lo
	s_and_b32 s0, s26, s0
	v_mul_f32_e32 v56, v58, v56
	v_sub_f32_e32 v58, v69, v146
	s_delay_alu instid0(VALU_DEP_2) | instskip(NEXT) | instid1(VALU_DEP_1)
	v_mul_f32_e32 v56, v54, v56
	v_cndmask_b32_e64 v56, v56, -|v56|, s29
	s_delay_alu instid0(VALU_DEP_1) | instskip(SKIP_3) | instid1(VALU_DEP_2)
	v_fmac_f32_e32 v112, 0x42340000, v56
	v_fma_f32 v56, -v53, v57, 1.0
	s_wait_alu 0xfffe
	v_cndmask_b32_e64 v57, 0, 1.0, s0
	v_cndmask_b32_e64 v56, v56, 1.0, vcc_lo
	s_delay_alu instid0(VALU_DEP_2) | instskip(NEXT) | instid1(VALU_DEP_1)
	v_mul_f32_e32 v57, s28, v57
	v_fmac_f32_e32 v112, v56, v57
	v_dual_sub_f32 v57, v68, v145 :: v_dual_sub_f32 v56, v171, v144
	s_delay_alu instid0(VALU_DEP_1) | instskip(NEXT) | instid1(VALU_DEP_1)
	v_mul_f32_e32 v57, v57, v57
	v_fmac_f32_e32 v57, v56, v56
	s_delay_alu instid0(VALU_DEP_1) | instskip(NEXT) | instid1(VALU_DEP_1)
	v_fmac_f32_e32 v57, v58, v58
	v_cmp_gt_f32_e32 vcc_lo, 0xf800000, v57
	v_mul_f32_e32 v56, 0x4f800000, v57
	s_wait_alu 0xfffd
	s_delay_alu instid0(VALU_DEP_1) | instskip(NEXT) | instid1(VALU_DEP_1)
	v_cndmask_b32_e32 v56, v57, v56, vcc_lo
	v_sqrt_f32_e32 v57, v56
	s_delay_alu instid0(TRANS32_DEP_1) | instskip(NEXT) | instid1(VALU_DEP_1)
	v_add_nc_u32_e32 v58, -1, v57
	v_fma_f32 v59, -v58, v57, v56
	s_delay_alu instid0(VALU_DEP_1) | instskip(SKIP_2) | instid1(VALU_DEP_2)
	v_cmp_ge_f32_e64 s0, 0, v59
	v_add_nc_u32_e32 v59, 1, v57
	s_wait_alu 0xf1ff
	v_cndmask_b32_e64 v58, v57, v58, s0
	s_delay_alu instid0(VALU_DEP_2) | instskip(NEXT) | instid1(VALU_DEP_1)
	v_fma_f32 v57, -v59, v57, v56
	v_cmp_lt_f32_e64 s0, 0, v57
	s_wait_alu 0xf1ff
	s_delay_alu instid0(VALU_DEP_1) | instskip(NEXT) | instid1(VALU_DEP_1)
	v_cndmask_b32_e64 v57, v58, v59, s0
	v_mul_f32_e32 v58, 0x37800000, v57
	s_delay_alu instid0(VALU_DEP_1) | instskip(SKIP_2) | instid1(VALU_DEP_2)
	v_cndmask_b32_e32 v57, v57, v58, vcc_lo
	v_cmp_class_f32_e64 vcc_lo, v56, 0x260
	s_wait_alu 0xfffd
	v_cndmask_b32_e32 v56, v57, v56, vcc_lo
	s_delay_alu instid0(VALU_DEP_1) | instskip(SKIP_1) | instid1(VALU_DEP_2)
	v_sub_f32_e32 v57, v56, v132
	v_fma_f32 v56, -v55, v56, 1.0
	v_cmp_gt_f32_e32 vcc_lo, 0, v57
	v_cmp_gt_f32_e64 s0, s30, v57
	s_wait_alu 0xfffd
	v_cndmask_b32_e64 v58, 0, 0x42980000, vcc_lo
	s_delay_alu instid0(VALU_DEP_1) | instskip(SKIP_4) | instid1(VALU_DEP_3)
	v_fmac_f32_e32 v113, v56, v58
	v_fma_f32 v56, -s31, v57, 1.0
	s_wait_alu 0xf1ff
	v_cndmask_b32_e64 v58, 0, 1.0, s0
	v_cmp_gt_f32_e64 s0, s27, v57
	v_cndmask_b32_e64 v56, v56, 1.0, vcc_lo
	s_and_b32 s0, s26, s0
	s_delay_alu instid0(VALU_DEP_1) | instskip(SKIP_1) | instid1(VALU_DEP_2)
	v_mul_f32_e32 v56, v58, v56
	v_sub_f32_e32 v58, v73, v146
	v_mul_f32_e32 v56, v54, v56
	s_delay_alu instid0(VALU_DEP_1) | instskip(NEXT) | instid1(VALU_DEP_1)
	v_cndmask_b32_e64 v56, v56, -|v56|, s29
	v_fmac_f32_e32 v113, 0x42340000, v56
	v_fma_f32 v56, -v53, v57, 1.0
	s_wait_alu 0xfffe
	v_cndmask_b32_e64 v57, 0, 1.0, s0
	s_delay_alu instid0(VALU_DEP_2) | instskip(NEXT) | instid1(VALU_DEP_2)
	v_cndmask_b32_e64 v56, v56, 1.0, vcc_lo
	v_mul_f32_e32 v57, s28, v57
	s_delay_alu instid0(VALU_DEP_1) | instskip(SKIP_1) | instid1(VALU_DEP_1)
	v_fmac_f32_e32 v113, v56, v57
	v_dual_sub_f32 v57, v72, v145 :: v_dual_sub_f32 v56, v71, v144
	v_mul_f32_e32 v57, v57, v57
	s_delay_alu instid0(VALU_DEP_1) | instskip(NEXT) | instid1(VALU_DEP_1)
	v_fmac_f32_e32 v57, v56, v56
	v_fmac_f32_e32 v57, v58, v58
	s_delay_alu instid0(VALU_DEP_1) | instskip(SKIP_2) | instid1(VALU_DEP_1)
	v_cmp_gt_f32_e32 vcc_lo, 0xf800000, v57
	v_mul_f32_e32 v56, 0x4f800000, v57
	s_wait_alu 0xfffd
	v_cndmask_b32_e32 v56, v57, v56, vcc_lo
	s_delay_alu instid0(VALU_DEP_1) | instskip(NEXT) | instid1(TRANS32_DEP_1)
	v_sqrt_f32_e32 v57, v56
	v_add_nc_u32_e32 v58, -1, v57
	s_delay_alu instid0(VALU_DEP_1) | instskip(NEXT) | instid1(VALU_DEP_1)
	v_fma_f32 v59, -v58, v57, v56
	v_cmp_ge_f32_e64 s0, 0, v59
	v_add_nc_u32_e32 v59, 1, v57
	s_wait_alu 0xf1ff
	s_delay_alu instid0(VALU_DEP_2) | instskip(NEXT) | instid1(VALU_DEP_2)
	v_cndmask_b32_e64 v58, v57, v58, s0
	v_fma_f32 v57, -v59, v57, v56
	s_delay_alu instid0(VALU_DEP_1) | instskip(SKIP_1) | instid1(VALU_DEP_1)
	v_cmp_lt_f32_e64 s0, 0, v57
	s_wait_alu 0xf1ff
	v_cndmask_b32_e64 v57, v58, v59, s0
	s_delay_alu instid0(VALU_DEP_1) | instskip(NEXT) | instid1(VALU_DEP_1)
	v_mul_f32_e32 v58, 0x37800000, v57
	v_cndmask_b32_e32 v57, v57, v58, vcc_lo
	v_cmp_class_f32_e64 vcc_lo, v56, 0x260
	s_wait_alu 0xfffd
	s_delay_alu instid0(VALU_DEP_2) | instskip(NEXT) | instid1(VALU_DEP_1)
	v_cndmask_b32_e32 v56, v57, v56, vcc_lo
	v_sub_f32_e32 v57, v56, v132
	v_fma_f32 v56, -v55, v56, 1.0
	s_delay_alu instid0(VALU_DEP_2) | instskip(SKIP_3) | instid1(VALU_DEP_1)
	v_cmp_gt_f32_e32 vcc_lo, 0, v57
	v_cmp_gt_f32_e64 s0, s30, v57
	s_wait_alu 0xfffd
	v_cndmask_b32_e64 v58, 0, 0x42980000, vcc_lo
	v_fmac_f32_e32 v114, v56, v58
	v_fma_f32 v56, -s31, v57, 1.0
	s_wait_alu 0xf1ff
	v_cndmask_b32_e64 v58, 0, 1.0, s0
	v_cmp_gt_f32_e64 s0, s27, v57
	s_delay_alu instid0(VALU_DEP_3) | instskip(SKIP_1) | instid1(VALU_DEP_1)
	v_cndmask_b32_e64 v56, v56, 1.0, vcc_lo
	s_and_b32 s0, s26, s0
	v_mul_f32_e32 v56, v58, v56
	v_sub_f32_e32 v58, v46, v146
	s_delay_alu instid0(VALU_DEP_2) | instskip(NEXT) | instid1(VALU_DEP_1)
	v_mul_f32_e32 v56, v54, v56
	v_cndmask_b32_e64 v56, v56, -|v56|, s29
	s_delay_alu instid0(VALU_DEP_1) | instskip(SKIP_3) | instid1(VALU_DEP_2)
	v_fmac_f32_e32 v114, 0x42340000, v56
	v_fma_f32 v56, -v53, v57, 1.0
	s_wait_alu 0xfffe
	v_cndmask_b32_e64 v57, 0, 1.0, s0
	v_cndmask_b32_e64 v56, v56, 1.0, vcc_lo
	s_delay_alu instid0(VALU_DEP_2) | instskip(NEXT) | instid1(VALU_DEP_1)
	v_mul_f32_e32 v57, s28, v57
	v_fmac_f32_e32 v114, v56, v57
	v_dual_sub_f32 v57, v75, v145 :: v_dual_sub_f32 v56, v61, v144
	s_delay_alu instid0(VALU_DEP_1) | instskip(NEXT) | instid1(VALU_DEP_1)
	v_mul_f32_e32 v57, v57, v57
	v_fmac_f32_e32 v57, v56, v56
	s_delay_alu instid0(VALU_DEP_1) | instskip(NEXT) | instid1(VALU_DEP_1)
	v_fmac_f32_e32 v57, v58, v58
	v_cmp_gt_f32_e32 vcc_lo, 0xf800000, v57
	v_mul_f32_e32 v56, 0x4f800000, v57
	s_wait_alu 0xfffd
	s_delay_alu instid0(VALU_DEP_1) | instskip(NEXT) | instid1(VALU_DEP_1)
	v_cndmask_b32_e32 v56, v57, v56, vcc_lo
	v_sqrt_f32_e32 v57, v56
	s_delay_alu instid0(TRANS32_DEP_1) | instskip(NEXT) | instid1(VALU_DEP_1)
	v_add_nc_u32_e32 v58, -1, v57
	v_fma_f32 v59, -v58, v57, v56
	s_delay_alu instid0(VALU_DEP_1) | instskip(SKIP_2) | instid1(VALU_DEP_2)
	v_cmp_ge_f32_e64 s0, 0, v59
	v_add_nc_u32_e32 v59, 1, v57
	s_wait_alu 0xf1ff
	v_cndmask_b32_e64 v58, v57, v58, s0
	s_delay_alu instid0(VALU_DEP_2) | instskip(NEXT) | instid1(VALU_DEP_1)
	v_fma_f32 v57, -v59, v57, v56
	v_cmp_lt_f32_e64 s0, 0, v57
	s_wait_alu 0xf1ff
	s_delay_alu instid0(VALU_DEP_1) | instskip(NEXT) | instid1(VALU_DEP_1)
	v_cndmask_b32_e64 v57, v58, v59, s0
	v_mul_f32_e32 v58, 0x37800000, v57
	s_delay_alu instid0(VALU_DEP_1) | instskip(SKIP_2) | instid1(VALU_DEP_2)
	v_cndmask_b32_e32 v57, v57, v58, vcc_lo
	v_cmp_class_f32_e64 vcc_lo, v56, 0x260
	s_wait_alu 0xfffd
	v_cndmask_b32_e32 v56, v57, v56, vcc_lo
	s_delay_alu instid0(VALU_DEP_1) | instskip(SKIP_1) | instid1(VALU_DEP_2)
	v_sub_f32_e32 v57, v56, v132
	v_fma_f32 v56, -v55, v56, 1.0
	v_cmp_gt_f32_e32 vcc_lo, 0, v57
	v_cmp_gt_f32_e64 s0, s30, v57
	s_wait_alu 0xfffd
	v_cndmask_b32_e64 v58, 0, 0x42980000, vcc_lo
	s_delay_alu instid0(VALU_DEP_1) | instskip(SKIP_4) | instid1(VALU_DEP_3)
	v_fmac_f32_e32 v115, v56, v58
	v_fma_f32 v56, -s31, v57, 1.0
	s_wait_alu 0xf1ff
	v_cndmask_b32_e64 v58, 0, 1.0, s0
	v_cmp_gt_f32_e64 s0, s27, v57
	v_cndmask_b32_e64 v56, v56, 1.0, vcc_lo
	s_and_b32 s0, s26, s0
	s_delay_alu instid0(VALU_DEP_1) | instskip(SKIP_1) | instid1(VALU_DEP_2)
	v_mul_f32_e32 v56, v58, v56
	v_sub_f32_e32 v58, v49, v146
	v_mul_f32_e32 v56, v54, v56
	s_delay_alu instid0(VALU_DEP_1) | instskip(NEXT) | instid1(VALU_DEP_1)
	v_cndmask_b32_e64 v56, v56, -|v56|, s29
	v_fmac_f32_e32 v115, 0x42340000, v56
	v_fma_f32 v56, -v53, v57, 1.0
	s_wait_alu 0xfffe
	v_cndmask_b32_e64 v57, 0, 1.0, s0
	s_delay_alu instid0(VALU_DEP_2) | instskip(NEXT) | instid1(VALU_DEP_2)
	v_cndmask_b32_e64 v56, v56, 1.0, vcc_lo
	v_mul_f32_e32 v57, s28, v57
	s_delay_alu instid0(VALU_DEP_1) | instskip(SKIP_1) | instid1(VALU_DEP_1)
	v_fmac_f32_e32 v115, v56, v57
	v_dual_sub_f32 v57, v29, v145 :: v_dual_sub_f32 v56, v48, v144
	v_mul_f32_e32 v57, v57, v57
	s_delay_alu instid0(VALU_DEP_1) | instskip(NEXT) | instid1(VALU_DEP_1)
	v_fmac_f32_e32 v57, v56, v56
	v_fmac_f32_e32 v57, v58, v58
	s_delay_alu instid0(VALU_DEP_1) | instskip(SKIP_2) | instid1(VALU_DEP_1)
	v_cmp_gt_f32_e32 vcc_lo, 0xf800000, v57
	v_mul_f32_e32 v56, 0x4f800000, v57
	s_wait_alu 0xfffd
	v_cndmask_b32_e32 v56, v57, v56, vcc_lo
	s_delay_alu instid0(VALU_DEP_1) | instskip(NEXT) | instid1(TRANS32_DEP_1)
	v_sqrt_f32_e32 v57, v56
	v_add_nc_u32_e32 v58, -1, v57
	s_delay_alu instid0(VALU_DEP_1) | instskip(NEXT) | instid1(VALU_DEP_1)
	v_fma_f32 v59, -v58, v57, v56
	v_cmp_ge_f32_e64 s0, 0, v59
	v_add_nc_u32_e32 v59, 1, v57
	s_wait_alu 0xf1ff
	s_delay_alu instid0(VALU_DEP_2) | instskip(NEXT) | instid1(VALU_DEP_2)
	v_cndmask_b32_e64 v58, v57, v58, s0
	v_fma_f32 v57, -v59, v57, v56
	s_delay_alu instid0(VALU_DEP_1) | instskip(SKIP_1) | instid1(VALU_DEP_1)
	v_cmp_lt_f32_e64 s0, 0, v57
	s_wait_alu 0xf1ff
	v_cndmask_b32_e64 v57, v58, v59, s0
	s_delay_alu instid0(VALU_DEP_1) | instskip(NEXT) | instid1(VALU_DEP_1)
	v_mul_f32_e32 v58, 0x37800000, v57
	v_cndmask_b32_e32 v57, v57, v58, vcc_lo
	v_cmp_class_f32_e64 vcc_lo, v56, 0x260
	s_wait_alu 0xfffd
	s_delay_alu instid0(VALU_DEP_2) | instskip(NEXT) | instid1(VALU_DEP_1)
	v_cndmask_b32_e32 v56, v57, v56, vcc_lo
	v_sub_f32_e32 v57, v56, v132
	v_fma_f32 v56, -v55, v56, 1.0
	s_delay_alu instid0(VALU_DEP_2) | instskip(SKIP_3) | instid1(VALU_DEP_1)
	v_cmp_gt_f32_e32 vcc_lo, 0, v57
	v_cmp_gt_f32_e64 s0, s30, v57
	s_wait_alu 0xfffd
	v_cndmask_b32_e64 v58, 0, 0x42980000, vcc_lo
	v_fmac_f32_e32 v108, v56, v58
	v_fma_f32 v56, -s31, v57, 1.0
	s_wait_alu 0xf1ff
	v_cndmask_b32_e64 v58, 0, 1.0, s0
	v_cmp_gt_f32_e64 s0, s27, v57
	s_delay_alu instid0(VALU_DEP_3) | instskip(SKIP_1) | instid1(VALU_DEP_1)
	v_cndmask_b32_e64 v56, v56, 1.0, vcc_lo
	s_and_b32 s0, s26, s0
	v_mul_f32_e32 v56, v58, v56
	v_sub_f32_e32 v58, v20, v146
	s_delay_alu instid0(VALU_DEP_2) | instskip(NEXT) | instid1(VALU_DEP_1)
	v_mul_f32_e32 v56, v54, v56
	v_cndmask_b32_e64 v56, v56, -|v56|, s29
	s_delay_alu instid0(VALU_DEP_1) | instskip(SKIP_3) | instid1(VALU_DEP_2)
	v_fmac_f32_e32 v108, 0x42340000, v56
	v_fma_f32 v56, -v53, v57, 1.0
	s_wait_alu 0xfffe
	v_cndmask_b32_e64 v57, 0, 1.0, s0
	v_cndmask_b32_e64 v56, v56, 1.0, vcc_lo
	s_delay_alu instid0(VALU_DEP_2) | instskip(NEXT) | instid1(VALU_DEP_1)
	v_mul_f32_e32 v57, s28, v57
	v_fmac_f32_e32 v108, v56, v57
	v_dual_sub_f32 v57, v25, v145 :: v_dual_sub_f32 v56, v24, v144
	s_delay_alu instid0(VALU_DEP_1) | instskip(NEXT) | instid1(VALU_DEP_1)
	v_mul_f32_e32 v57, v57, v57
	v_fmac_f32_e32 v57, v56, v56
	s_delay_alu instid0(VALU_DEP_1) | instskip(NEXT) | instid1(VALU_DEP_1)
	v_fmac_f32_e32 v57, v58, v58
	v_cmp_gt_f32_e32 vcc_lo, 0xf800000, v57
	v_mul_f32_e32 v56, 0x4f800000, v57
	s_wait_alu 0xfffd
	s_delay_alu instid0(VALU_DEP_1) | instskip(NEXT) | instid1(VALU_DEP_1)
	v_cndmask_b32_e32 v56, v57, v56, vcc_lo
	v_sqrt_f32_e32 v57, v56
	s_delay_alu instid0(TRANS32_DEP_1) | instskip(NEXT) | instid1(VALU_DEP_1)
	v_add_nc_u32_e32 v58, -1, v57
	v_fma_f32 v59, -v58, v57, v56
	s_delay_alu instid0(VALU_DEP_1) | instskip(SKIP_2) | instid1(VALU_DEP_2)
	v_cmp_ge_f32_e64 s0, 0, v59
	v_add_nc_u32_e32 v59, 1, v57
	s_wait_alu 0xf1ff
	v_cndmask_b32_e64 v58, v57, v58, s0
	s_delay_alu instid0(VALU_DEP_2) | instskip(NEXT) | instid1(VALU_DEP_1)
	v_fma_f32 v57, -v59, v57, v56
	v_cmp_lt_f32_e64 s0, 0, v57
	s_wait_alu 0xf1ff
	s_delay_alu instid0(VALU_DEP_1) | instskip(NEXT) | instid1(VALU_DEP_1)
	v_cndmask_b32_e64 v57, v58, v59, s0
	v_mul_f32_e32 v58, 0x37800000, v57
	s_delay_alu instid0(VALU_DEP_1) | instskip(SKIP_2) | instid1(VALU_DEP_2)
	v_cndmask_b32_e32 v57, v57, v58, vcc_lo
	v_cmp_class_f32_e64 vcc_lo, v56, 0x260
	s_wait_alu 0xfffd
	v_cndmask_b32_e32 v56, v57, v56, vcc_lo
	s_delay_alu instid0(VALU_DEP_1) | instskip(SKIP_1) | instid1(VALU_DEP_2)
	v_sub_f32_e32 v57, v56, v132
	v_fma_f32 v56, -v55, v56, 1.0
	v_cmp_gt_f32_e32 vcc_lo, 0, v57
	v_cmp_gt_f32_e64 s0, s30, v57
	s_wait_alu 0xfffd
	v_cndmask_b32_e64 v58, 0, 0x42980000, vcc_lo
	s_delay_alu instid0(VALU_DEP_1) | instskip(SKIP_4) | instid1(VALU_DEP_3)
	v_fmac_f32_e32 v109, v56, v58
	v_fma_f32 v56, -s31, v57, 1.0
	s_wait_alu 0xf1ff
	v_cndmask_b32_e64 v58, 0, 1.0, s0
	v_cmp_gt_f32_e64 s0, s27, v57
	v_cndmask_b32_e64 v56, v56, 1.0, vcc_lo
	s_and_b32 s0, s26, s0
	s_delay_alu instid0(VALU_DEP_1) | instskip(SKIP_1) | instid1(VALU_DEP_2)
	v_mul_f32_e32 v56, v58, v56
	v_sub_f32_e32 v58, v16, v146
	v_mul_f32_e32 v56, v54, v56
	s_delay_alu instid0(VALU_DEP_1) | instskip(NEXT) | instid1(VALU_DEP_1)
	v_cndmask_b32_e64 v56, v56, -|v56|, s29
	v_fmac_f32_e32 v109, 0x42340000, v56
	v_fma_f32 v56, -v53, v57, 1.0
	s_wait_alu 0xfffe
	v_cndmask_b32_e64 v57, 0, 1.0, s0
	s_delay_alu instid0(VALU_DEP_2) | instskip(NEXT) | instid1(VALU_DEP_2)
	v_cndmask_b32_e64 v56, v56, 1.0, vcc_lo
	v_mul_f32_e32 v57, s28, v57
	s_delay_alu instid0(VALU_DEP_1) | instskip(SKIP_1) | instid1(VALU_DEP_1)
	v_dual_fmac_f32 v109, v56, v57 :: v_dual_sub_f32 v56, v21, v144
	v_sub_f32_e32 v57, v23, v145
	v_mul_f32_e32 v57, v57, v57
	s_delay_alu instid0(VALU_DEP_1) | instskip(NEXT) | instid1(VALU_DEP_1)
	v_fmac_f32_e32 v57, v56, v56
	v_fmac_f32_e32 v57, v58, v58
	s_delay_alu instid0(VALU_DEP_1) | instskip(SKIP_2) | instid1(VALU_DEP_1)
	v_cmp_gt_f32_e32 vcc_lo, 0xf800000, v57
	v_mul_f32_e32 v56, 0x4f800000, v57
	s_wait_alu 0xfffd
	v_cndmask_b32_e32 v56, v57, v56, vcc_lo
	s_delay_alu instid0(VALU_DEP_1) | instskip(NEXT) | instid1(TRANS32_DEP_1)
	v_sqrt_f32_e32 v57, v56
	v_add_nc_u32_e32 v58, -1, v57
	s_delay_alu instid0(VALU_DEP_1) | instskip(NEXT) | instid1(VALU_DEP_1)
	v_fma_f32 v59, -v58, v57, v56
	v_cmp_ge_f32_e64 s0, 0, v59
	v_add_nc_u32_e32 v59, 1, v57
	s_wait_alu 0xf1ff
	s_delay_alu instid0(VALU_DEP_2) | instskip(NEXT) | instid1(VALU_DEP_2)
	v_cndmask_b32_e64 v58, v57, v58, s0
	v_fma_f32 v57, -v59, v57, v56
	s_delay_alu instid0(VALU_DEP_1) | instskip(SKIP_1) | instid1(VALU_DEP_1)
	v_cmp_lt_f32_e64 s0, 0, v57
	s_wait_alu 0xf1ff
	v_cndmask_b32_e64 v57, v58, v59, s0
	s_delay_alu instid0(VALU_DEP_1) | instskip(NEXT) | instid1(VALU_DEP_1)
	v_mul_f32_e32 v58, 0x37800000, v57
	v_cndmask_b32_e32 v57, v57, v58, vcc_lo
	v_cmp_class_f32_e64 vcc_lo, v56, 0x260
	s_wait_alu 0xfffd
	s_delay_alu instid0(VALU_DEP_2) | instskip(NEXT) | instid1(VALU_DEP_1)
	v_cndmask_b32_e32 v56, v57, v56, vcc_lo
	v_sub_f32_e32 v57, v56, v132
	v_fma_f32 v56, -v55, v56, 1.0
	s_delay_alu instid0(VALU_DEP_2) | instskip(SKIP_3) | instid1(VALU_DEP_1)
	v_cmp_gt_f32_e32 vcc_lo, 0, v57
	v_cmp_gt_f32_e64 s0, s30, v57
	s_wait_alu 0xfffd
	v_cndmask_b32_e64 v58, 0, 0x42980000, vcc_lo
	v_fmac_f32_e32 v110, v56, v58
	v_fma_f32 v56, -s31, v57, 1.0
	s_wait_alu 0xf1ff
	v_cndmask_b32_e64 v58, 0, 1.0, s0
	v_cmp_gt_f32_e64 s0, s27, v57
	s_delay_alu instid0(VALU_DEP_3) | instskip(SKIP_1) | instid1(VALU_DEP_1)
	v_cndmask_b32_e64 v56, v56, 1.0, vcc_lo
	s_and_b32 s0, s26, s0
	v_mul_f32_e32 v56, v58, v56
	v_sub_f32_e32 v58, v13, v146
	s_delay_alu instid0(VALU_DEP_2) | instskip(NEXT) | instid1(VALU_DEP_1)
	v_mul_f32_e32 v56, v54, v56
	v_cndmask_b32_e64 v56, v56, -|v56|, s29
	s_delay_alu instid0(VALU_DEP_1) | instskip(SKIP_3) | instid1(VALU_DEP_2)
	v_fmac_f32_e32 v110, 0x42340000, v56
	v_fma_f32 v56, -v53, v57, 1.0
	s_wait_alu 0xfffe
	v_cndmask_b32_e64 v57, 0, 1.0, s0
	v_cndmask_b32_e64 v56, v56, 1.0, vcc_lo
	s_delay_alu instid0(VALU_DEP_2) | instskip(NEXT) | instid1(VALU_DEP_1)
	v_mul_f32_e32 v57, s28, v57
	v_fmac_f32_e32 v110, v56, v57
	v_dual_sub_f32 v57, v12, v145 :: v_dual_sub_f32 v56, v17, v144
	s_delay_alu instid0(VALU_DEP_1) | instskip(NEXT) | instid1(VALU_DEP_1)
	v_mul_f32_e32 v57, v57, v57
	v_fmac_f32_e32 v57, v56, v56
	s_delay_alu instid0(VALU_DEP_1) | instskip(NEXT) | instid1(VALU_DEP_1)
	v_fmac_f32_e32 v57, v58, v58
	v_cmp_gt_f32_e32 vcc_lo, 0xf800000, v57
	v_mul_f32_e32 v56, 0x4f800000, v57
	s_wait_alu 0xfffd
	s_delay_alu instid0(VALU_DEP_1) | instskip(NEXT) | instid1(VALU_DEP_1)
	v_cndmask_b32_e32 v56, v57, v56, vcc_lo
	v_sqrt_f32_e32 v57, v56
	s_delay_alu instid0(TRANS32_DEP_1) | instskip(NEXT) | instid1(VALU_DEP_1)
	v_add_nc_u32_e32 v58, -1, v57
	v_fma_f32 v59, -v58, v57, v56
	s_delay_alu instid0(VALU_DEP_1) | instskip(SKIP_2) | instid1(VALU_DEP_2)
	v_cmp_ge_f32_e64 s0, 0, v59
	v_add_nc_u32_e32 v59, 1, v57
	s_wait_alu 0xf1ff
	v_cndmask_b32_e64 v58, v57, v58, s0
	s_delay_alu instid0(VALU_DEP_2) | instskip(NEXT) | instid1(VALU_DEP_1)
	v_fma_f32 v57, -v59, v57, v56
	v_cmp_lt_f32_e64 s0, 0, v57
	s_wait_alu 0xf1ff
	s_delay_alu instid0(VALU_DEP_1) | instskip(NEXT) | instid1(VALU_DEP_1)
	v_cndmask_b32_e64 v57, v58, v59, s0
	v_mul_f32_e32 v58, 0x37800000, v57
	s_delay_alu instid0(VALU_DEP_1) | instskip(SKIP_2) | instid1(VALU_DEP_2)
	v_cndmask_b32_e32 v57, v57, v58, vcc_lo
	v_cmp_class_f32_e64 vcc_lo, v56, 0x260
	s_wait_alu 0xfffd
	v_cndmask_b32_e32 v56, v57, v56, vcc_lo
	s_delay_alu instid0(VALU_DEP_1) | instskip(SKIP_1) | instid1(VALU_DEP_2)
	v_sub_f32_e32 v57, v56, v132
	v_fma_f32 v56, -v55, v56, 1.0
	v_cmp_gt_f32_e32 vcc_lo, 0, v57
	v_cmp_gt_f32_e64 s0, s30, v57
	s_wait_alu 0xfffd
	v_cndmask_b32_e64 v58, 0, 0x42980000, vcc_lo
	s_delay_alu instid0(VALU_DEP_1) | instskip(SKIP_4) | instid1(VALU_DEP_3)
	v_fmac_f32_e32 v111, v56, v58
	v_fma_f32 v56, -s31, v57, 1.0
	s_wait_alu 0xf1ff
	v_cndmask_b32_e64 v58, 0, 1.0, s0
	v_cmp_gt_f32_e64 s0, s27, v57
	v_cndmask_b32_e64 v56, v56, 1.0, vcc_lo
	s_and_b32 s0, s26, s0
	s_delay_alu instid0(VALU_DEP_1) | instskip(SKIP_1) | instid1(VALU_DEP_2)
	v_mul_f32_e32 v56, v58, v56
	v_sub_f32_e32 v58, v0, v146
	v_mul_f32_e32 v56, v54, v56
	s_delay_alu instid0(VALU_DEP_1) | instskip(NEXT) | instid1(VALU_DEP_1)
	v_cndmask_b32_e64 v56, v56, -|v56|, s29
	v_fmac_f32_e32 v111, 0x42340000, v56
	v_fma_f32 v56, -v53, v57, 1.0
	s_wait_alu 0xfffe
	v_cndmask_b32_e64 v57, 0, 1.0, s0
	s_delay_alu instid0(VALU_DEP_2) | instskip(NEXT) | instid1(VALU_DEP_2)
	v_cndmask_b32_e64 v56, v56, 1.0, vcc_lo
	v_mul_f32_e32 v57, s28, v57
	s_delay_alu instid0(VALU_DEP_1) | instskip(SKIP_1) | instid1(VALU_DEP_1)
	v_fmac_f32_e32 v111, v56, v57
	v_dual_sub_f32 v57, v45, v145 :: v_dual_sub_f32 v56, v8, v144
	v_mul_f32_e32 v57, v57, v57
	s_delay_alu instid0(VALU_DEP_1) | instskip(NEXT) | instid1(VALU_DEP_1)
	v_fmac_f32_e32 v57, v56, v56
	v_fmac_f32_e32 v57, v58, v58
	s_delay_alu instid0(VALU_DEP_1) | instskip(SKIP_2) | instid1(VALU_DEP_1)
	v_cmp_gt_f32_e32 vcc_lo, 0xf800000, v57
	v_mul_f32_e32 v56, 0x4f800000, v57
	s_wait_alu 0xfffd
	v_cndmask_b32_e32 v56, v57, v56, vcc_lo
	s_delay_alu instid0(VALU_DEP_1) | instskip(NEXT) | instid1(TRANS32_DEP_1)
	v_sqrt_f32_e32 v57, v56
	v_add_nc_u32_e32 v58, -1, v57
	s_delay_alu instid0(VALU_DEP_1) | instskip(NEXT) | instid1(VALU_DEP_1)
	v_fma_f32 v59, -v58, v57, v56
	v_cmp_ge_f32_e64 s0, 0, v59
	v_add_nc_u32_e32 v59, 1, v57
	s_wait_alu 0xf1ff
	s_delay_alu instid0(VALU_DEP_2) | instskip(NEXT) | instid1(VALU_DEP_2)
	v_cndmask_b32_e64 v58, v57, v58, s0
	v_fma_f32 v57, -v59, v57, v56
	s_delay_alu instid0(VALU_DEP_1) | instskip(SKIP_1) | instid1(VALU_DEP_1)
	v_cmp_lt_f32_e64 s0, 0, v57
	s_wait_alu 0xf1ff
	v_cndmask_b32_e64 v57, v58, v59, s0
	s_delay_alu instid0(VALU_DEP_1) | instskip(NEXT) | instid1(VALU_DEP_1)
	v_mul_f32_e32 v58, 0x37800000, v57
	v_cndmask_b32_e32 v57, v57, v58, vcc_lo
	v_cmp_class_f32_e64 vcc_lo, v56, 0x260
	s_wait_alu 0xfffd
	s_delay_alu instid0(VALU_DEP_2) | instskip(NEXT) | instid1(VALU_DEP_1)
	v_cndmask_b32_e32 v56, v57, v56, vcc_lo
	v_sub_f32_e32 v57, v56, v132
	v_fma_f32 v56, -v55, v56, 1.0
	s_delay_alu instid0(VALU_DEP_2) | instskip(SKIP_3) | instid1(VALU_DEP_1)
	v_cmp_gt_f32_e32 vcc_lo, 0, v57
	v_cmp_gt_f32_e64 s0, s30, v57
	s_wait_alu 0xfffd
	v_cndmask_b32_e64 v58, 0, 0x42980000, vcc_lo
	v_fmac_f32_e32 v140, v56, v58
	v_fma_f32 v56, -s31, v57, 1.0
	s_wait_alu 0xf1ff
	v_cndmask_b32_e64 v58, 0, 1.0, s0
	v_cmp_gt_f32_e64 s0, s27, v57
	s_delay_alu instid0(VALU_DEP_3) | instskip(SKIP_1) | instid1(VALU_DEP_1)
	v_cndmask_b32_e64 v56, v56, 1.0, vcc_lo
	s_and_b32 s0, s26, s0
	v_mul_f32_e32 v56, v58, v56
	v_sub_f32_e32 v58, v3, v146
	s_delay_alu instid0(VALU_DEP_2) | instskip(NEXT) | instid1(VALU_DEP_1)
	v_mul_f32_e32 v56, v54, v56
	v_cndmask_b32_e64 v56, v56, -|v56|, s29
	s_delay_alu instid0(VALU_DEP_1) | instskip(SKIP_3) | instid1(VALU_DEP_2)
	v_fmac_f32_e32 v140, 0x42340000, v56
	v_fma_f32 v56, -v53, v57, 1.0
	s_wait_alu 0xfffe
	v_cndmask_b32_e64 v57, 0, 1.0, s0
	v_cndmask_b32_e64 v56, v56, 1.0, vcc_lo
	s_delay_alu instid0(VALU_DEP_2) | instskip(NEXT) | instid1(VALU_DEP_1)
	v_mul_f32_e32 v57, s28, v57
	v_fmac_f32_e32 v140, v56, v57
	v_dual_sub_f32 v57, v2, v145 :: v_dual_sub_f32 v56, v1, v144
	s_delay_alu instid0(VALU_DEP_1) | instskip(NEXT) | instid1(VALU_DEP_1)
	v_mul_f32_e32 v57, v57, v57
	v_fmac_f32_e32 v57, v56, v56
	s_delay_alu instid0(VALU_DEP_1) | instskip(NEXT) | instid1(VALU_DEP_1)
	v_fmac_f32_e32 v57, v58, v58
	v_cmp_gt_f32_e32 vcc_lo, 0xf800000, v57
	v_mul_f32_e32 v56, 0x4f800000, v57
	s_wait_alu 0xfffd
	s_delay_alu instid0(VALU_DEP_1) | instskip(NEXT) | instid1(VALU_DEP_1)
	v_cndmask_b32_e32 v56, v57, v56, vcc_lo
	v_sqrt_f32_e32 v57, v56
	s_delay_alu instid0(TRANS32_DEP_1) | instskip(NEXT) | instid1(VALU_DEP_1)
	v_add_nc_u32_e32 v58, -1, v57
	v_fma_f32 v59, -v58, v57, v56
	s_delay_alu instid0(VALU_DEP_1) | instskip(SKIP_2) | instid1(VALU_DEP_2)
	v_cmp_ge_f32_e64 s0, 0, v59
	v_add_nc_u32_e32 v59, 1, v57
	s_wait_alu 0xf1ff
	v_cndmask_b32_e64 v58, v57, v58, s0
	s_delay_alu instid0(VALU_DEP_2) | instskip(NEXT) | instid1(VALU_DEP_1)
	v_fma_f32 v57, -v59, v57, v56
	v_cmp_lt_f32_e64 s0, 0, v57
	s_wait_alu 0xf1ff
	s_delay_alu instid0(VALU_DEP_1) | instskip(NEXT) | instid1(VALU_DEP_1)
	v_cndmask_b32_e64 v57, v58, v59, s0
	v_mul_f32_e32 v58, 0x37800000, v57
	s_delay_alu instid0(VALU_DEP_1) | instskip(SKIP_2) | instid1(VALU_DEP_2)
	v_cndmask_b32_e32 v57, v57, v58, vcc_lo
	v_cmp_class_f32_e64 vcc_lo, v56, 0x260
	s_wait_alu 0xfffd
	v_cndmask_b32_e32 v56, v57, v56, vcc_lo
	s_delay_alu instid0(VALU_DEP_1) | instskip(SKIP_1) | instid1(VALU_DEP_2)
	v_sub_f32_e32 v57, v56, v132
	v_fma_f32 v56, -v55, v56, 1.0
	v_cmp_gt_f32_e32 vcc_lo, 0, v57
	v_cmp_gt_f32_e64 s0, s30, v57
	s_wait_alu 0xfffd
	v_cndmask_b32_e64 v58, 0, 0x42980000, vcc_lo
	s_delay_alu instid0(VALU_DEP_1) | instskip(SKIP_4) | instid1(VALU_DEP_3)
	v_fmac_f32_e32 v141, v56, v58
	v_fma_f32 v56, -s31, v57, 1.0
	s_wait_alu 0xf1ff
	v_cndmask_b32_e64 v58, 0, 1.0, s0
	v_cmp_gt_f32_e64 s0, s27, v57
	v_cndmask_b32_e64 v56, v56, 1.0, vcc_lo
	s_and_b32 s0, s26, s0
	s_delay_alu instid0(VALU_DEP_1) | instskip(SKIP_1) | instid1(VALU_DEP_2)
	v_mul_f32_e32 v56, v58, v56
	v_sub_f32_e32 v58, v7, v146
	v_mul_f32_e32 v56, v54, v56
	s_delay_alu instid0(VALU_DEP_1) | instskip(NEXT) | instid1(VALU_DEP_1)
	v_cndmask_b32_e64 v56, v56, -|v56|, s29
	v_fmac_f32_e32 v141, 0x42340000, v56
	v_fma_f32 v56, -v53, v57, 1.0
	s_wait_alu 0xfffe
	v_cndmask_b32_e64 v57, 0, 1.0, s0
	s_delay_alu instid0(VALU_DEP_2) | instskip(NEXT) | instid1(VALU_DEP_2)
	v_cndmask_b32_e64 v56, v56, 1.0, vcc_lo
	v_mul_f32_e32 v57, s28, v57
	s_delay_alu instid0(VALU_DEP_1) | instskip(SKIP_1) | instid1(VALU_DEP_1)
	v_fmac_f32_e32 v141, v56, v57
	v_dual_sub_f32 v57, v5, v145 :: v_dual_sub_f32 v56, v6, v144
	v_mul_f32_e32 v57, v57, v57
	s_delay_alu instid0(VALU_DEP_1) | instskip(NEXT) | instid1(VALU_DEP_1)
	v_fmac_f32_e32 v57, v56, v56
	v_fmac_f32_e32 v57, v58, v58
	s_delay_alu instid0(VALU_DEP_1) | instskip(SKIP_2) | instid1(VALU_DEP_1)
	v_cmp_gt_f32_e32 vcc_lo, 0xf800000, v57
	v_mul_f32_e32 v56, 0x4f800000, v57
	s_wait_alu 0xfffd
	v_cndmask_b32_e32 v56, v57, v56, vcc_lo
	s_delay_alu instid0(VALU_DEP_1) | instskip(NEXT) | instid1(TRANS32_DEP_1)
	v_sqrt_f32_e32 v57, v56
	v_add_nc_u32_e32 v58, -1, v57
	s_delay_alu instid0(VALU_DEP_1) | instskip(NEXT) | instid1(VALU_DEP_1)
	v_fma_f32 v59, -v58, v57, v56
	v_cmp_ge_f32_e64 s0, 0, v59
	v_add_nc_u32_e32 v59, 1, v57
	s_wait_alu 0xf1ff
	s_delay_alu instid0(VALU_DEP_2) | instskip(NEXT) | instid1(VALU_DEP_2)
	v_cndmask_b32_e64 v58, v57, v58, s0
	v_fma_f32 v57, -v59, v57, v56
	s_delay_alu instid0(VALU_DEP_1) | instskip(SKIP_1) | instid1(VALU_DEP_1)
	v_cmp_lt_f32_e64 s0, 0, v57
	s_wait_alu 0xf1ff
	v_cndmask_b32_e64 v57, v58, v59, s0
	s_delay_alu instid0(VALU_DEP_1) | instskip(NEXT) | instid1(VALU_DEP_1)
	v_mul_f32_e32 v58, 0x37800000, v57
	v_cndmask_b32_e32 v57, v57, v58, vcc_lo
	v_cmp_class_f32_e64 vcc_lo, v56, 0x260
	s_wait_alu 0xfffd
	s_delay_alu instid0(VALU_DEP_2) | instskip(NEXT) | instid1(VALU_DEP_1)
	v_cndmask_b32_e32 v56, v57, v56, vcc_lo
	v_sub_f32_e32 v57, v56, v132
	v_fma_f32 v56, -v55, v56, 1.0
	s_delay_alu instid0(VALU_DEP_2) | instskip(SKIP_3) | instid1(VALU_DEP_1)
	v_cmp_gt_f32_e32 vcc_lo, 0, v57
	v_cmp_gt_f32_e64 s0, s30, v57
	s_wait_alu 0xfffd
	v_cndmask_b32_e64 v58, 0, 0x42980000, vcc_lo
	v_fmac_f32_e32 v142, v56, v58
	v_fma_f32 v56, -s31, v57, 1.0
	s_wait_alu 0xf1ff
	v_cndmask_b32_e64 v58, 0, 1.0, s0
	v_cmp_gt_f32_e64 s0, s27, v57
	s_delay_alu instid0(VALU_DEP_3) | instskip(SKIP_1) | instid1(VALU_DEP_1)
	v_cndmask_b32_e64 v56, v56, 1.0, vcc_lo
	s_and_b32 s0, s26, s0
	v_mul_f32_e32 v56, v58, v56
	v_sub_f32_e32 v58, v191, v146
	s_delay_alu instid0(VALU_DEP_2) | instskip(NEXT) | instid1(VALU_DEP_1)
	v_mul_f32_e32 v56, v54, v56
	v_cndmask_b32_e64 v56, v56, -|v56|, s29
	s_delay_alu instid0(VALU_DEP_1) | instskip(SKIP_3) | instid1(VALU_DEP_2)
	v_fmac_f32_e32 v142, 0x42340000, v56
	v_fma_f32 v56, -v53, v57, 1.0
	s_wait_alu 0xfffe
	v_cndmask_b32_e64 v57, 0, 1.0, s0
	v_cndmask_b32_e64 v56, v56, 1.0, vcc_lo
	s_delay_alu instid0(VALU_DEP_2) | instskip(NEXT) | instid1(VALU_DEP_1)
	v_mul_f32_e32 v57, s28, v57
	v_fmac_f32_e32 v142, v56, v57
	v_dual_sub_f32 v57, v10, v145 :: v_dual_sub_f32 v56, v9, v144
	s_delay_alu instid0(VALU_DEP_1) | instskip(NEXT) | instid1(VALU_DEP_1)
	v_mul_f32_e32 v57, v57, v57
	v_fmac_f32_e32 v57, v56, v56
	s_delay_alu instid0(VALU_DEP_1) | instskip(NEXT) | instid1(VALU_DEP_1)
	v_fmac_f32_e32 v57, v58, v58
	v_cmp_gt_f32_e32 vcc_lo, 0xf800000, v57
	v_mul_f32_e32 v56, 0x4f800000, v57
	s_wait_alu 0xfffd
	s_delay_alu instid0(VALU_DEP_1) | instskip(NEXT) | instid1(VALU_DEP_1)
	v_cndmask_b32_e32 v56, v57, v56, vcc_lo
	v_sqrt_f32_e32 v57, v56
	s_delay_alu instid0(TRANS32_DEP_1) | instskip(NEXT) | instid1(VALU_DEP_1)
	v_add_nc_u32_e32 v58, -1, v57
	v_fma_f32 v59, -v58, v57, v56
	s_delay_alu instid0(VALU_DEP_1) | instskip(SKIP_2) | instid1(VALU_DEP_2)
	v_cmp_ge_f32_e64 s0, 0, v59
	v_add_nc_u32_e32 v59, 1, v57
	s_wait_alu 0xf1ff
	v_cndmask_b32_e64 v58, v57, v58, s0
	s_delay_alu instid0(VALU_DEP_2) | instskip(NEXT) | instid1(VALU_DEP_1)
	v_fma_f32 v57, -v59, v57, v56
	v_cmp_lt_f32_e64 s0, 0, v57
	s_wait_alu 0xf1ff
	s_delay_alu instid0(VALU_DEP_1) | instskip(NEXT) | instid1(VALU_DEP_1)
	v_cndmask_b32_e64 v57, v58, v59, s0
	v_mul_f32_e32 v58, 0x37800000, v57
	s_delay_alu instid0(VALU_DEP_1) | instskip(SKIP_2) | instid1(VALU_DEP_2)
	v_cndmask_b32_e32 v57, v57, v58, vcc_lo
	v_cmp_class_f32_e64 vcc_lo, v56, 0x260
	s_wait_alu 0xfffd
	v_cndmask_b32_e32 v56, v57, v56, vcc_lo
	s_delay_alu instid0(VALU_DEP_1) | instskip(SKIP_1) | instid1(VALU_DEP_2)
	v_sub_f32_e32 v57, v56, v132
	v_fma_f32 v56, -v55, v56, 1.0
	v_cmp_gt_f32_e32 vcc_lo, 0, v57
	v_cmp_gt_f32_e64 s0, s30, v57
	s_wait_alu 0xfffd
	v_cndmask_b32_e64 v58, 0, 0x42980000, vcc_lo
	s_delay_alu instid0(VALU_DEP_1) | instskip(SKIP_4) | instid1(VALU_DEP_3)
	v_fmac_f32_e32 v143, v56, v58
	v_fma_f32 v56, -s31, v57, 1.0
	s_wait_alu 0xf1ff
	v_cndmask_b32_e64 v58, 0, 1.0, s0
	v_cmp_gt_f32_e64 s0, s27, v57
	v_cndmask_b32_e64 v56, v56, 1.0, vcc_lo
	s_and_b32 s0, s26, s0
	s_delay_alu instid0(VALU_DEP_1) | instskip(SKIP_1) | instid1(VALU_DEP_2)
	v_mul_f32_e32 v56, v58, v56
	v_sub_f32_e32 v58, v18, v146
	v_mul_f32_e32 v56, v54, v56
	s_delay_alu instid0(VALU_DEP_1) | instskip(NEXT) | instid1(VALU_DEP_1)
	v_cndmask_b32_e64 v56, v56, -|v56|, s29
	v_fmac_f32_e32 v143, 0x42340000, v56
	v_fma_f32 v56, -v53, v57, 1.0
	s_wait_alu 0xfffe
	v_cndmask_b32_e64 v57, 0, 1.0, s0
	s_delay_alu instid0(VALU_DEP_2) | instskip(NEXT) | instid1(VALU_DEP_2)
	v_cndmask_b32_e64 v56, v56, 1.0, vcc_lo
	v_mul_f32_e32 v57, s28, v57
	s_delay_alu instid0(VALU_DEP_1) | instskip(SKIP_1) | instid1(VALU_DEP_1)
	v_fmac_f32_e32 v143, v56, v57
	v_dual_sub_f32 v57, v15, v145 :: v_dual_sub_f32 v56, v14, v144
	v_mul_f32_e32 v57, v57, v57
	s_delay_alu instid0(VALU_DEP_1) | instskip(NEXT) | instid1(VALU_DEP_1)
	v_fmac_f32_e32 v57, v56, v56
	v_fmac_f32_e32 v57, v58, v58
	s_delay_alu instid0(VALU_DEP_1) | instskip(SKIP_2) | instid1(VALU_DEP_1)
	v_cmp_gt_f32_e32 vcc_lo, 0xf800000, v57
	v_mul_f32_e32 v56, 0x4f800000, v57
	s_wait_alu 0xfffd
	v_cndmask_b32_e32 v56, v57, v56, vcc_lo
	s_delay_alu instid0(VALU_DEP_1) | instskip(NEXT) | instid1(TRANS32_DEP_1)
	v_sqrt_f32_e32 v57, v56
	v_add_nc_u32_e32 v58, -1, v57
	s_delay_alu instid0(VALU_DEP_1) | instskip(NEXT) | instid1(VALU_DEP_1)
	v_fma_f32 v59, -v58, v57, v56
	v_cmp_ge_f32_e64 s0, 0, v59
	v_add_nc_u32_e32 v59, 1, v57
	s_wait_alu 0xf1ff
	s_delay_alu instid0(VALU_DEP_2) | instskip(NEXT) | instid1(VALU_DEP_2)
	v_cndmask_b32_e64 v58, v57, v58, s0
	v_fma_f32 v57, -v59, v57, v56
	s_delay_alu instid0(VALU_DEP_1) | instskip(SKIP_1) | instid1(VALU_DEP_1)
	v_cmp_lt_f32_e64 s0, 0, v57
	s_wait_alu 0xf1ff
	v_cndmask_b32_e64 v57, v58, v59, s0
	s_delay_alu instid0(VALU_DEP_1) | instskip(NEXT) | instid1(VALU_DEP_1)
	v_mul_f32_e32 v58, 0x37800000, v57
	v_cndmask_b32_e32 v57, v57, v58, vcc_lo
	v_cmp_class_f32_e64 vcc_lo, v56, 0x260
	s_wait_alu 0xfffd
	s_delay_alu instid0(VALU_DEP_2) | instskip(NEXT) | instid1(VALU_DEP_1)
	v_cndmask_b32_e32 v56, v57, v56, vcc_lo
	v_sub_f32_e32 v57, v56, v132
	v_fma_f32 v56, -v55, v56, 1.0
	s_delay_alu instid0(VALU_DEP_2) | instskip(SKIP_3) | instid1(VALU_DEP_1)
	v_cmp_gt_f32_e32 vcc_lo, 0, v57
	v_cmp_gt_f32_e64 s0, s30, v57
	s_wait_alu 0xfffd
	v_cndmask_b32_e64 v58, 0, 0x42980000, vcc_lo
	v_fmac_f32_e32 v136, v56, v58
	v_fma_f32 v56, -s31, v57, 1.0
	s_wait_alu 0xf1ff
	v_cndmask_b32_e64 v58, 0, 1.0, s0
	v_cmp_gt_f32_e64 s0, s27, v57
	s_delay_alu instid0(VALU_DEP_3) | instskip(SKIP_1) | instid1(VALU_DEP_1)
	v_cndmask_b32_e64 v56, v56, 1.0, vcc_lo
	s_and_b32 s0, s26, s0
	v_mul_f32_e32 v56, v58, v56
	v_sub_f32_e32 v58, v62, v146
	s_delay_alu instid0(VALU_DEP_2) | instskip(NEXT) | instid1(VALU_DEP_1)
	v_mul_f32_e32 v56, v54, v56
	v_cndmask_b32_e64 v56, v56, -|v56|, s29
	s_delay_alu instid0(VALU_DEP_1) | instskip(SKIP_3) | instid1(VALU_DEP_2)
	v_fmac_f32_e32 v136, 0x42340000, v56
	v_fma_f32 v56, -v53, v57, 1.0
	s_wait_alu 0xfffe
	v_cndmask_b32_e64 v57, 0, 1.0, s0
	v_cndmask_b32_e64 v56, v56, 1.0, vcc_lo
	s_delay_alu instid0(VALU_DEP_2) | instskip(NEXT) | instid1(VALU_DEP_1)
	v_mul_f32_e32 v57, s28, v57
	v_fmac_f32_e32 v136, v56, v57
	v_dual_sub_f32 v57, v22, v145 :: v_dual_sub_f32 v56, v19, v144
	s_delay_alu instid0(VALU_DEP_1) | instskip(NEXT) | instid1(VALU_DEP_1)
	v_mul_f32_e32 v57, v57, v57
	v_fmac_f32_e32 v57, v56, v56
	s_delay_alu instid0(VALU_DEP_1) | instskip(NEXT) | instid1(VALU_DEP_1)
	v_fmac_f32_e32 v57, v58, v58
	v_cmp_gt_f32_e32 vcc_lo, 0xf800000, v57
	v_mul_f32_e32 v56, 0x4f800000, v57
	s_wait_alu 0xfffd
	s_delay_alu instid0(VALU_DEP_1) | instskip(NEXT) | instid1(VALU_DEP_1)
	v_cndmask_b32_e32 v56, v57, v56, vcc_lo
	v_sqrt_f32_e32 v57, v56
	s_delay_alu instid0(TRANS32_DEP_1) | instskip(NEXT) | instid1(VALU_DEP_1)
	v_add_nc_u32_e32 v58, -1, v57
	v_fma_f32 v59, -v58, v57, v56
	s_delay_alu instid0(VALU_DEP_1) | instskip(SKIP_2) | instid1(VALU_DEP_2)
	v_cmp_ge_f32_e64 s0, 0, v59
	v_add_nc_u32_e32 v59, 1, v57
	s_wait_alu 0xf1ff
	v_cndmask_b32_e64 v58, v57, v58, s0
	s_delay_alu instid0(VALU_DEP_2) | instskip(NEXT) | instid1(VALU_DEP_1)
	v_fma_f32 v57, -v59, v57, v56
	v_cmp_lt_f32_e64 s0, 0, v57
	s_wait_alu 0xf1ff
	s_delay_alu instid0(VALU_DEP_1) | instskip(NEXT) | instid1(VALU_DEP_1)
	v_cndmask_b32_e64 v57, v58, v59, s0
	v_mul_f32_e32 v58, 0x37800000, v57
	s_delay_alu instid0(VALU_DEP_1) | instskip(SKIP_2) | instid1(VALU_DEP_2)
	v_cndmask_b32_e32 v57, v57, v58, vcc_lo
	v_cmp_class_f32_e64 vcc_lo, v56, 0x260
	s_wait_alu 0xfffd
	v_cndmask_b32_e32 v56, v57, v56, vcc_lo
	s_delay_alu instid0(VALU_DEP_1) | instskip(SKIP_1) | instid1(VALU_DEP_2)
	v_sub_f32_e32 v57, v56, v132
	v_fma_f32 v56, -v55, v56, 1.0
	v_cmp_gt_f32_e32 vcc_lo, 0, v57
	v_cmp_gt_f32_e64 s0, s30, v57
	s_wait_alu 0xfffd
	v_cndmask_b32_e64 v58, 0, 0x42980000, vcc_lo
	s_delay_alu instid0(VALU_DEP_1) | instskip(SKIP_4) | instid1(VALU_DEP_3)
	v_fmac_f32_e32 v137, v56, v58
	v_fma_f32 v56, -s31, v57, 1.0
	s_wait_alu 0xf1ff
	v_cndmask_b32_e64 v58, 0, 1.0, s0
	v_cmp_gt_f32_e64 s0, s27, v57
	v_cndmask_b32_e64 v56, v56, 1.0, vcc_lo
	s_and_b32 s0, s26, s0
	s_delay_alu instid0(VALU_DEP_1) | instskip(SKIP_1) | instid1(VALU_DEP_2)
	v_mul_f32_e32 v56, v58, v56
	v_sub_f32_e32 v58, v30, v146
	v_mul_f32_e32 v56, v54, v56
	s_delay_alu instid0(VALU_DEP_1) | instskip(NEXT) | instid1(VALU_DEP_1)
	v_cndmask_b32_e64 v56, v56, -|v56|, s29
	v_fmac_f32_e32 v137, 0x42340000, v56
	v_fma_f32 v56, -v53, v57, 1.0
	s_wait_alu 0xfffe
	v_cndmask_b32_e64 v57, 0, 1.0, s0
	s_delay_alu instid0(VALU_DEP_2) | instskip(NEXT) | instid1(VALU_DEP_2)
	v_cndmask_b32_e64 v56, v56, 1.0, vcc_lo
	v_mul_f32_e32 v57, s28, v57
	s_delay_alu instid0(VALU_DEP_1) | instskip(SKIP_2) | instid1(VALU_DEP_2)
	v_fmac_f32_e32 v137, v56, v57
	v_dual_sub_f32 v57, v28, v145 :: v_dual_sub_f32 v56, v27, v144
	v_dual_sub_f32 v145, v32, v145 :: v_dual_sub_f32 v144, v190, v144
	v_mul_f32_e32 v57, v57, v57
	s_delay_alu instid0(VALU_DEP_1) | instskip(NEXT) | instid1(VALU_DEP_1)
	v_fmac_f32_e32 v57, v56, v56
	v_fmac_f32_e32 v57, v58, v58
	s_delay_alu instid0(VALU_DEP_1) | instskip(SKIP_2) | instid1(VALU_DEP_1)
	v_cmp_gt_f32_e32 vcc_lo, 0xf800000, v57
	v_mul_f32_e32 v56, 0x4f800000, v57
	s_wait_alu 0xfffd
	v_cndmask_b32_e32 v56, v57, v56, vcc_lo
	s_delay_alu instid0(VALU_DEP_1) | instskip(NEXT) | instid1(TRANS32_DEP_1)
	v_sqrt_f32_e32 v57, v56
	v_add_nc_u32_e32 v58, -1, v57
	s_delay_alu instid0(VALU_DEP_1) | instskip(NEXT) | instid1(VALU_DEP_1)
	v_fma_f32 v59, -v58, v57, v56
	v_cmp_ge_f32_e64 s0, 0, v59
	v_add_nc_u32_e32 v59, 1, v57
	s_wait_alu 0xf1ff
	s_delay_alu instid0(VALU_DEP_2) | instskip(NEXT) | instid1(VALU_DEP_2)
	v_cndmask_b32_e64 v58, v57, v58, s0
	v_fma_f32 v57, -v59, v57, v56
	s_delay_alu instid0(VALU_DEP_1) | instskip(SKIP_1) | instid1(VALU_DEP_1)
	v_cmp_lt_f32_e64 s0, 0, v57
	s_wait_alu 0xf1ff
	v_cndmask_b32_e64 v57, v58, v59, s0
	s_delay_alu instid0(VALU_DEP_1) | instskip(NEXT) | instid1(VALU_DEP_1)
	v_mul_f32_e32 v58, 0x37800000, v57
	v_cndmask_b32_e32 v57, v57, v58, vcc_lo
	v_cmp_class_f32_e64 vcc_lo, v56, 0x260
	s_wait_alu 0xfffd
	s_delay_alu instid0(VALU_DEP_2) | instskip(NEXT) | instid1(VALU_DEP_1)
	v_cndmask_b32_e32 v56, v57, v56, vcc_lo
	v_sub_f32_e32 v57, v56, v132
	v_fma_f32 v56, -v55, v56, 1.0
	s_delay_alu instid0(VALU_DEP_2) | instskip(SKIP_3) | instid1(VALU_DEP_1)
	v_cmp_gt_f32_e32 vcc_lo, 0, v57
	v_cmp_gt_f32_e64 s0, s30, v57
	s_wait_alu 0xfffd
	v_cndmask_b32_e64 v58, 0, 0x42980000, vcc_lo
	v_fmac_f32_e32 v138, v56, v58
	v_fma_f32 v56, -s31, v57, 1.0
	s_wait_alu 0xf1ff
	v_cndmask_b32_e64 v58, 0, 1.0, s0
	v_cmp_gt_f32_e64 s0, s27, v57
	s_delay_alu instid0(VALU_DEP_3) | instskip(SKIP_1) | instid1(VALU_DEP_1)
	v_cndmask_b32_e64 v56, v56, 1.0, vcc_lo
	s_and_b32 s0, s26, s0
	v_mul_f32_e32 v56, v58, v56
	s_delay_alu instid0(VALU_DEP_1) | instskip(NEXT) | instid1(VALU_DEP_1)
	v_mul_f32_e32 v56, v54, v56
	v_cndmask_b32_e64 v56, v56, -|v56|, s29
	s_delay_alu instid0(VALU_DEP_1) | instskip(SKIP_3) | instid1(VALU_DEP_2)
	v_fmac_f32_e32 v138, 0x42340000, v56
	v_fma_f32 v56, -v53, v57, 1.0
	s_wait_alu 0xfffe
	v_cndmask_b32_e64 v57, 0, 1.0, s0
	v_cndmask_b32_e64 v56, v56, 1.0, vcc_lo
	s_delay_alu instid0(VALU_DEP_2) | instskip(NEXT) | instid1(VALU_DEP_1)
	v_mul_f32_e32 v57, s28, v57
	v_fmac_f32_e32 v138, v56, v57
	v_mul_f32_e32 v56, v145, v145
	s_delay_alu instid0(VALU_DEP_1) | instskip(NEXT) | instid1(VALU_DEP_1)
	v_fmac_f32_e32 v56, v144, v144
	v_fmac_f32_e32 v56, v134, v134
	s_delay_alu instid0(VALU_DEP_1) | instskip(SKIP_2) | instid1(VALU_DEP_1)
	v_cmp_gt_f32_e32 vcc_lo, 0xf800000, v56
	v_mul_f32_e32 v57, 0x4f800000, v56
	s_wait_alu 0xfffd
	v_cndmask_b32_e32 v134, v56, v57, vcc_lo
	s_delay_alu instid0(VALU_DEP_1) | instskip(NEXT) | instid1(TRANS32_DEP_1)
	v_sqrt_f32_e32 v56, v134
	v_add_nc_u32_e32 v57, -1, v56
	s_delay_alu instid0(VALU_DEP_1) | instskip(NEXT) | instid1(VALU_DEP_1)
	v_fma_f32 v58, -v57, v56, v134
	v_cmp_ge_f32_e64 s0, 0, v58
	v_add_nc_u32_e32 v58, 1, v56
	s_wait_alu 0xf1ff
	s_delay_alu instid0(VALU_DEP_2) | instskip(NEXT) | instid1(VALU_DEP_2)
	v_cndmask_b32_e64 v57, v56, v57, s0
	v_fma_f32 v56, -v58, v56, v134
	s_delay_alu instid0(VALU_DEP_1) | instskip(SKIP_1) | instid1(VALU_DEP_1)
	v_cmp_lt_f32_e64 s0, 0, v56
	s_wait_alu 0xf1ff
	v_cndmask_b32_e64 v56, v57, v58, s0
	s_delay_alu instid0(VALU_DEP_1) | instskip(NEXT) | instid1(VALU_DEP_1)
	v_mul_f32_e32 v57, 0x37800000, v56
	v_cndmask_b32_e32 v56, v56, v57, vcc_lo
	v_cmp_class_f32_e64 vcc_lo, v134, 0x260
	s_wait_alu 0xfffd
	s_delay_alu instid0(VALU_DEP_2) | instskip(NEXT) | instid1(VALU_DEP_1)
	v_cndmask_b32_e32 v56, v56, v134, vcc_lo
	v_sub_f32_e32 v132, v56, v132
	v_fma_f32 v55, -v55, v56, 1.0
	s_delay_alu instid0(VALU_DEP_2) | instskip(SKIP_4) | instid1(VALU_DEP_2)
	v_cmp_gt_f32_e32 vcc_lo, 0, v132
	v_cmp_gt_f32_e64 s0, s30, v132
	v_fma_f32 v53, -v53, v132, 1.0
	s_wait_alu 0xfffd
	v_cndmask_b32_e64 v56, 0, 0x42980000, vcc_lo
	v_cndmask_b32_e64 v53, v53, 1.0, vcc_lo
	s_delay_alu instid0(VALU_DEP_2) | instskip(SKIP_4) | instid1(VALU_DEP_3)
	v_fmac_f32_e32 v139, v55, v56
	v_fma_f32 v55, -s31, v132, 1.0
	s_wait_alu 0xf1ff
	v_cndmask_b32_e64 v56, 0, 1.0, s0
	v_cmp_gt_f32_e64 s0, s27, v132
	v_cndmask_b32_e64 v55, v55, 1.0, vcc_lo
	s_and_b32 s0, s26, s0
	s_cmp_lg_u32 s20, 0
	s_delay_alu instid0(VALU_DEP_1) | instskip(NEXT) | instid1(VALU_DEP_1)
	v_mul_f32_e32 v55, v56, v55
	v_mul_f32_e32 v54, v54, v55
	s_delay_alu instid0(VALU_DEP_1) | instskip(NEXT) | instid1(VALU_DEP_1)
	v_cndmask_b32_e64 v54, v54, -|v54|, s29
	v_fmac_f32_e32 v139, 0x42340000, v54
	s_wait_alu 0xfffe
	v_cndmask_b32_e64 v54, 0, 1.0, s0
	s_delay_alu instid0(VALU_DEP_1) | instskip(NEXT) | instid1(VALU_DEP_1)
	v_mul_f32_e32 v54, s28, v54
	v_fmac_f32_e32 v139, v53, v54
	s_cbranch_scc1 .LBB5_28
; %bb.29:                               ;   in Loop: Header=BB5_27 Depth=1
	s_add_co_i32 s12, s12, 1
	s_clause 0x3
	scratch_store_b128 off, v[128:131], off
	scratch_store_b128 off, v[124:127], off offset:16
	scratch_store_b128 off, v[120:123], off offset:32
	;; [unrolled: 1-line block ×3, first 2 shown]
	s_wait_alu 0xfffe
	s_cmp_lg_u32 s12, s3
	s_clause 0x3
	scratch_store_b128 off, v[112:115], off offset:64
	scratch_store_b128 off, v[108:111], off offset:80
	scratch_store_b128 off, v[140:143], off offset:96
	scratch_store_b128 off, v[136:139], off offset:112
	s_cbranch_scc1 .LBB5_27
; %bb.30:
	s_and_saveexec_b32 s0, s2
	s_cbranch_execz .LBB5_32
; %bb.31:
	s_clause 0x3
	scratch_load_b128 v[0:3], off, off offset:84
	scratch_load_b128 v[4:7], off, off offset:100
	scratch_load_b96 v[8:10], off, off offset:116
	scratch_load_b64 v[11:12], off, off offset:2916 th:TH_LOAD_LU
	v_mul_f32_e32 v19, 0.5, v128
	v_dual_mov_b32 v41, 0 :: v_dual_mul_f32 v20, 0.5, v129
	v_dual_mul_f32 v21, 0.5, v130 :: v_dual_mul_f32 v22, 0.5, v131
	v_dual_mul_f32 v23, 0.5, v124 :: v_dual_mul_f32 v24, 0.5, v125
	;; [unrolled: 1-line block ×9, first 2 shown]
	s_wait_loadcnt 0x3
	v_dual_mul_f32 v37, 0.5, v114 :: v_dual_mul_f32 v0, 0.5, v0
	v_mul_f32_e32 v2, 0.5, v2
	s_wait_loadcnt 0x2
	v_mul_f32_e32 v4, 0.5, v4
	s_wait_loadcnt 0x0
	v_mov_b32_e32 v40, v11
	v_mul_f32_e32 v6, 0.5, v6
	v_mul_f32_e32 v8, 0.5, v8
	v_dual_mul_f32 v10, 0.5, v10 :: v_dual_mul_f32 v1, 0.5, v1
	s_delay_alu instid0(VALU_DEP_4) | instskip(SKIP_4) | instid1(VALU_DEP_4)
	v_lshlrev_b64_e32 v[11:12], 2, v[40:41]
	v_dual_mul_f32 v3, 0.5, v3 :: v_dual_add_nc_u32 v40, s24, v40
	v_mul_f32_e32 v5, 0.5, v5
	v_mul_f32_e32 v7, 0.5, v7
	;; [unrolled: 1-line block ×3, first 2 shown]
	v_lshlrev_b64_e32 v[13:14], 2, v[40:41]
	v_add_nc_u32_e32 v40, s24, v40
	v_add_co_u32 v11, vcc_lo, s4, v11
	s_wait_alu 0xfffd
	v_add_co_ci_u32_e64 v12, null, s5, v12, vcc_lo
	s_delay_alu instid0(VALU_DEP_3) | instskip(SKIP_4) | instid1(VALU_DEP_3)
	v_lshlrev_b64_e32 v[15:16], 2, v[40:41]
	v_add_nc_u32_e32 v40, s24, v40
	v_add_co_u32 v13, vcc_lo, s4, v13
	s_wait_alu 0xfffd
	v_add_co_ci_u32_e64 v14, null, s5, v14, vcc_lo
	v_lshlrev_b64_e32 v[17:18], 2, v[40:41]
	v_add_nc_u32_e32 v40, s24, v40
	v_add_co_u32 v15, vcc_lo, s4, v15
	s_wait_alu 0xfffd
	v_add_co_ci_u32_e64 v16, null, s5, v16, vcc_lo
	s_clause 0x1
	global_store_b32 v[11:12], v19, off
	global_store_b32 v[13:14], v20, off
	v_lshlrev_b64_e32 v[11:12], 2, v[40:41]
	v_add_nc_u32_e32 v40, s24, v40
	global_store_b32 v[15:16], v21, off
	v_add_co_u32 v13, vcc_lo, s4, v17
	s_wait_alu 0xfffd
	v_add_co_ci_u32_e64 v14, null, s5, v18, vcc_lo
	v_lshlrev_b64_e32 v[15:16], 2, v[40:41]
	v_add_nc_u32_e32 v40, s24, v40
	v_add_co_u32 v11, vcc_lo, s4, v11
	s_wait_alu 0xfffd
	v_add_co_ci_u32_e64 v12, null, s5, v12, vcc_lo
	s_delay_alu instid0(VALU_DEP_3)
	v_lshlrev_b64_e32 v[17:18], 2, v[40:41]
	v_add_nc_u32_e32 v40, s24, v40
	v_add_co_u32 v15, vcc_lo, s4, v15
	s_wait_alu 0xfffd
	v_add_co_ci_u32_e64 v16, null, s5, v16, vcc_lo
	s_clause 0x1
	global_store_b32 v[13:14], v22, off
	global_store_b32 v[11:12], v23, off
	v_lshlrev_b64_e32 v[11:12], 2, v[40:41]
	v_add_nc_u32_e32 v40, s24, v40
	global_store_b32 v[15:16], v24, off
	v_add_co_u32 v13, vcc_lo, s4, v17
	s_wait_alu 0xfffd
	v_add_co_ci_u32_e64 v14, null, s5, v18, vcc_lo
	v_lshlrev_b64_e32 v[15:16], 2, v[40:41]
	v_add_nc_u32_e32 v40, s24, v40
	v_add_co_u32 v11, vcc_lo, s4, v11
	s_wait_alu 0xfffd
	v_add_co_ci_u32_e64 v12, null, s5, v12, vcc_lo
	s_delay_alu instid0(VALU_DEP_3)
	;; [unrolled: 20-line block ×6, first 2 shown]
	v_lshlrev_b64_e32 v[17:18], 2, v[40:41]
	v_add_nc_u32_e32 v40, s24, v40
	v_add_co_u32 v15, vcc_lo, s4, v15
	s_wait_alu 0xfffd
	v_add_co_ci_u32_e64 v16, null, s5, v16, vcc_lo
	s_clause 0x1
	global_store_b32 v[13:14], v37, off
	global_store_b32 v[11:12], v38, off
	v_lshlrev_b64_e32 v[11:12], 2, v[40:41]
	v_add_nc_u32_e32 v40, s24, v40
	global_store_b32 v[15:16], v39, off
	v_add_co_u32 v13, vcc_lo, s4, v17
	s_wait_alu 0xfffd
	v_add_co_ci_u32_e64 v14, null, s5, v18, vcc_lo
	v_lshlrev_b64_e32 v[15:16], 2, v[40:41]
	v_add_nc_u32_e32 v40, s24, v40
	v_add_co_u32 v11, vcc_lo, s4, v11
	s_wait_alu 0xfffd
	v_add_co_ci_u32_e64 v12, null, s5, v12, vcc_lo
	s_delay_alu instid0(VALU_DEP_3) | instskip(SKIP_4) | instid1(VALU_DEP_3)
	v_lshlrev_b64_e32 v[17:18], 2, v[40:41]
	v_add_nc_u32_e32 v40, s24, v40
	v_add_co_u32 v15, vcc_lo, s4, v15
	s_wait_alu 0xfffd
	v_add_co_ci_u32_e64 v16, null, s5, v16, vcc_lo
	v_lshlrev_b64_e32 v[19:20], 2, v[40:41]
	v_add_nc_u32_e32 v40, s24, v40
	v_add_co_u32 v17, vcc_lo, s4, v17
	s_wait_alu 0xfffd
	v_add_co_ci_u32_e64 v18, null, s5, v18, vcc_lo
	s_delay_alu instid0(VALU_DEP_3) | instskip(SKIP_4) | instid1(VALU_DEP_3)
	v_lshlrev_b64_e32 v[21:22], 2, v[40:41]
	v_add_nc_u32_e32 v40, s24, v40
	;; [unrolled: 11-line block ×4, first 2 shown]
	v_add_co_u32 v27, vcc_lo, s4, v27
	s_wait_alu 0xfffd
	v_add_co_ci_u32_e64 v28, null, s5, v28, vcc_lo
	v_lshlrev_b64_e32 v[31:32], 2, v[40:41]
	v_add_co_u32 v29, vcc_lo, s4, v29
	s_wait_alu 0xfffd
	v_add_co_ci_u32_e64 v30, null, s5, v30, vcc_lo
	s_delay_alu instid0(VALU_DEP_3)
	v_add_co_u32 v31, vcc_lo, s4, v31
	s_wait_alu 0xfffd
	v_add_co_ci_u32_e64 v32, null, s5, v32, vcc_lo
	s_clause 0xa
	global_store_b32 v[13:14], v0, off
	global_store_b32 v[11:12], v1, off
	;; [unrolled: 1-line block ×11, first 2 shown]
.LBB5_32:
	s_nop 0
	s_sendmsg sendmsg(MSG_DEALLOC_VGPRS)
	s_endpgm
	.section	.rodata,"a",@progbits
	.p2align	6, 0x0
	.amdhsa_kernel _ZL11fasten_mainILm32EEviiPK4AtomS2_PKfS4_S4_S4_S4_S4_PfPK8FFParamsi
		.amdhsa_group_segment_fixed_size 0
		.amdhsa_private_segment_fixed_size 2928
		.amdhsa_kernarg_size 352
		.amdhsa_user_sgpr_count 2
		.amdhsa_user_sgpr_dispatch_ptr 0
		.amdhsa_user_sgpr_queue_ptr 0
		.amdhsa_user_sgpr_kernarg_segment_ptr 1
		.amdhsa_user_sgpr_dispatch_id 0
		.amdhsa_user_sgpr_private_segment_size 0
		.amdhsa_wavefront_size32 1
		.amdhsa_uses_dynamic_stack 0
		.amdhsa_enable_private_segment 1
		.amdhsa_system_sgpr_workgroup_id_x 1
		.amdhsa_system_sgpr_workgroup_id_y 0
		.amdhsa_system_sgpr_workgroup_id_z 0
		.amdhsa_system_sgpr_workgroup_info 0
		.amdhsa_system_vgpr_workitem_id 0
		.amdhsa_next_free_vgpr 192
		.amdhsa_next_free_sgpr 35
		.amdhsa_reserve_vcc 1
		.amdhsa_float_round_mode_32 0
		.amdhsa_float_round_mode_16_64 0
		.amdhsa_float_denorm_mode_32 3
		.amdhsa_float_denorm_mode_16_64 3
		.amdhsa_fp16_overflow 0
		.amdhsa_workgroup_processor_mode 1
		.amdhsa_memory_ordered 1
		.amdhsa_forward_progress 1
		.amdhsa_inst_pref_size 200
		.amdhsa_round_robin_scheduling 0
		.amdhsa_exception_fp_ieee_invalid_op 0
		.amdhsa_exception_fp_denorm_src 0
		.amdhsa_exception_fp_ieee_div_zero 0
		.amdhsa_exception_fp_ieee_overflow 0
		.amdhsa_exception_fp_ieee_underflow 0
		.amdhsa_exception_fp_ieee_inexact 0
		.amdhsa_exception_int_div_zero 0
	.end_amdhsa_kernel
	.section	.text._ZL11fasten_mainILm32EEviiPK4AtomS2_PKfS4_S4_S4_S4_S4_PfPK8FFParamsi,"axG",@progbits,_ZL11fasten_mainILm32EEviiPK4AtomS2_PKfS4_S4_S4_S4_S4_PfPK8FFParamsi,comdat
.Lfunc_end5:
	.size	_ZL11fasten_mainILm32EEviiPK4AtomS2_PKfS4_S4_S4_S4_S4_PfPK8FFParamsi, .Lfunc_end5-_ZL11fasten_mainILm32EEviiPK4AtomS2_PKfS4_S4_S4_S4_S4_PfPK8FFParamsi
                                        ; -- End function
	.set _ZL11fasten_mainILm32EEviiPK4AtomS2_PKfS4_S4_S4_S4_S4_PfPK8FFParamsi.num_vgpr, 192
	.set _ZL11fasten_mainILm32EEviiPK4AtomS2_PKfS4_S4_S4_S4_S4_PfPK8FFParamsi.num_agpr, 0
	.set _ZL11fasten_mainILm32EEviiPK4AtomS2_PKfS4_S4_S4_S4_S4_PfPK8FFParamsi.numbered_sgpr, 35
	.set _ZL11fasten_mainILm32EEviiPK4AtomS2_PKfS4_S4_S4_S4_S4_PfPK8FFParamsi.num_named_barrier, 0
	.set _ZL11fasten_mainILm32EEviiPK4AtomS2_PKfS4_S4_S4_S4_S4_PfPK8FFParamsi.private_seg_size, 2928
	.set _ZL11fasten_mainILm32EEviiPK4AtomS2_PKfS4_S4_S4_S4_S4_PfPK8FFParamsi.uses_vcc, 1
	.set _ZL11fasten_mainILm32EEviiPK4AtomS2_PKfS4_S4_S4_S4_S4_PfPK8FFParamsi.uses_flat_scratch, 1
	.set _ZL11fasten_mainILm32EEviiPK4AtomS2_PKfS4_S4_S4_S4_S4_PfPK8FFParamsi.has_dyn_sized_stack, 0
	.set _ZL11fasten_mainILm32EEviiPK4AtomS2_PKfS4_S4_S4_S4_S4_PfPK8FFParamsi.has_recursion, 0
	.set _ZL11fasten_mainILm32EEviiPK4AtomS2_PKfS4_S4_S4_S4_S4_PfPK8FFParamsi.has_indirect_call, 0
	.section	.AMDGPU.csdata,"",@progbits
; Kernel info:
; codeLenInByte = 25500
; TotalNumSgprs: 37
; NumVgprs: 192
; ScratchSize: 2928
; MemoryBound: 0
; FloatMode: 240
; IeeeMode: 1
; LDSByteSize: 0 bytes/workgroup (compile time only)
; SGPRBlocks: 0
; VGPRBlocks: 23
; NumSGPRsForWavesPerEU: 37
; NumVGPRsForWavesPerEU: 192
; Occupancy: 8
; WaveLimiterHint : 1
; COMPUTE_PGM_RSRC2:SCRATCH_EN: 1
; COMPUTE_PGM_RSRC2:USER_SGPR: 2
; COMPUTE_PGM_RSRC2:TRAP_HANDLER: 0
; COMPUTE_PGM_RSRC2:TGID_X_EN: 1
; COMPUTE_PGM_RSRC2:TGID_Y_EN: 0
; COMPUTE_PGM_RSRC2:TGID_Z_EN: 0
; COMPUTE_PGM_RSRC2:TIDIG_COMP_CNT: 0
	.section	.text._ZL11fasten_mainILm64EEviiPK4AtomS2_PKfS4_S4_S4_S4_S4_PfPK8FFParamsi,"axG",@progbits,_ZL11fasten_mainILm64EEviiPK4AtomS2_PKfS4_S4_S4_S4_S4_PfPK8FFParamsi,comdat
	.globl	_ZL11fasten_mainILm64EEviiPK4AtomS2_PKfS4_S4_S4_S4_S4_PfPK8FFParamsi ; -- Begin function _ZL11fasten_mainILm64EEviiPK4AtomS2_PKfS4_S4_S4_S4_S4_PfPK8FFParamsi
	.p2align	8
	.type	_ZL11fasten_mainILm64EEviiPK4AtomS2_PKfS4_S4_S4_S4_S4_PfPK8FFParamsi,@function
_ZL11fasten_mainILm64EEviiPK4AtomS2_PKfS4_S4_S4_S4_S4_PfPK8FFParamsi: ; @_ZL11fasten_mainILm64EEviiPK4AtomS2_PKfS4_S4_S4_S4_S4_PfPK8FFParamsi
; %bb.0:
	s_clause 0x2
	s_load_b32 s2, s[0:1], 0x6c
	s_load_b32 s3, s[0:1], 0x58
	s_load_b512 s[8:23], s[0:1], 0x8
	s_mov_b32 s5, 0
	s_mov_b32 s7, 0
	;; [unrolled: 1-line block ×5, first 2 shown]
	v_mov_b32_e32 v3, 0
	s_wait_kmcnt 0x0
	s_and_b32 s24, s2, 0xffff
	s_sub_co_i32 s4, s3, 64
	s_mul_i32 s2, ttmp9, s24
	s_lshl_b32 s6, s24, 2
	v_lshl_add_u32 v1, s2, 6, v0
	s_delay_alu instid0(VALU_DEP_1) | instskip(SKIP_4) | instid1(VALU_DEP_1)
	v_cmp_gt_i32_e64 s2, s3, v1
	v_mov_b32_e32 v0, v1
	scratch_store_b64 off, v[0:1], off offset:4836 ; 8-byte Folded Spill
	s_wait_alu 0xf1ff
	v_cndmask_b32_e64 v0, s4, v1, s2
	v_ashrrev_i32_e32 v1, 31, v0
	s_delay_alu instid0(VALU_DEP_1)
	v_lshlrev_b64_e32 v[0:1], 2, v[0:1]
	s_branch .LBB6_2
.LBB6_1:                                ;   in Loop: Header=BB6_2 Depth=1
	s_wait_alu 0xfffe
	s_or_b32 exec_lo, exec_lo, s3
	v_add_co_u32 v20, vcc_lo, s18, v0
	s_wait_alu 0xfffd
	v_add_co_ci_u32_e64 v21, null, s19, v1, vcc_lo
	v_add_co_u32 v23, vcc_lo, s20, v0
	s_wait_alu 0xfffd
	v_add_co_ci_u32_e64 v24, null, s21, v1, vcc_lo
	;; [unrolled: 3-line block ×3, first 2 shown]
	global_load_b32 v20, v[20:21], off
	global_load_b32 v24, v[23:24], off
	global_load_b32 v28, v[25:26], off
	v_dual_mul_f32 v34, v2, v2 :: v_dual_and_b32 v29, 1, v13
	v_dual_mul_f32 v30, v8, v8 :: v_dual_and_b32 v23, 1, v19
	v_dual_mul_f32 v32, v6, v6 :: v_dual_lshlrev_b32 v19, 30, v19
	v_mul_f32_e32 v25, v14, v14
	s_delay_alu instid0(VALU_DEP_4)
	v_fmaak_f32 v46, s26, v34, 0x3c0881c4
	v_dual_mul_f32 v21, v18, v18 :: v_dual_and_b32 v26, 1, v16
	v_lshlrev_b32_e32 v16, 30, v16
	v_mul_f32_e32 v27, v12, v12
	v_dual_fmaak_f32 v38, s26, v25, 0x3c0881c4 :: v_dual_and_b32 v33, 1, v7
	v_dual_fmaak_f32 v44, s26, v32, 0x3c0881c4 :: v_dual_and_b32 v35, 1, v22
	v_fmaak_f32 v46, v34, v46, 0xbe2aaa9d
	v_fmaak_f32 v45, s27, v32, 0xbab64f3b
	v_dual_fmaak_f32 v36, s26, v21, 0x3c0881c4 :: v_dual_and_b32 v31, 1, v10
	v_lshlrev_b32_e32 v10, 30, v10
	v_dual_fmaak_f32 v40, s26, v27, 0x3c0881c4 :: v_dual_lshlrev_b32 v13, 30, v13
	v_dual_fmaak_f32 v42, s26, v30, 0x3c0881c4 :: v_dual_lshlrev_b32 v7, 30, v7
	;; [unrolled: 1-line block ×3, first 2 shown]
	v_fmaak_f32 v38, v25, v38, 0xbe2aaa9d
	v_fmaak_f32 v44, v32, v44, 0xbe2aaa9d
	v_dual_mul_f32 v46, v34, v46 :: v_dual_fmaak_f32 v45, v32, v45, 0x3d2aabf7
	s_delay_alu instid0(VALU_DEP_3) | instskip(NEXT) | instid1(VALU_DEP_3)
	v_dual_fmaak_f32 v39, s27, v25, 0xbab64f3b :: v_dual_mul_f32 v38, v25, v38
	v_dual_fmaak_f32 v43, s27, v30, 0xbab64f3b :: v_dual_mul_f32 v44, v32, v44
	v_fmaak_f32 v36, v21, v36, 0xbe2aaa9d
	s_delay_alu instid0(VALU_DEP_3)
	v_dual_fmaak_f32 v37, v21, v37, 0x3d2aabf7 :: v_dual_fmac_f32 v14, v14, v38
	v_fmaak_f32 v40, v27, v40, 0xbe2aaa9d
	v_fmaak_f32 v41, s27, v27, 0xbab64f3b
	;; [unrolled: 1-line block ×3, first 2 shown]
	v_dual_fmac_f32 v2, v2, v46 :: v_dual_fmaak_f32 v45, v32, v45, 0xbf000004
	v_dual_mul_f32 v36, v21, v36 :: v_dual_and_b32 v19, 0x80000000, v19
	s_delay_alu instid0(VALU_DEP_3)
	v_dual_mul_f32 v42, v30, v42 :: v_dual_and_b32 v13, 0x80000000, v13
	v_dual_fmaak_f32 v39, v25, v39, 0x3d2aabf7 :: v_dual_mul_f32 v40, v27, v40
	v_dual_fmaak_f32 v41, v27, v41, 0x3d2aabf7 :: v_dual_fmac_f32 v6, v6, v44
	v_fma_f32 v32, v32, v45, 1.0
	v_fmaak_f32 v37, v21, v37, 0xbf000004
	v_dual_fmac_f32 v18, v18, v36 :: v_dual_and_b32 v7, 0x80000000, v7
	v_dual_fmac_f32 v8, v8, v42 :: v_dual_fmaak_f32 v39, v25, v39, 0xbf000004
	s_delay_alu instid0(VALU_DEP_3)
	v_fma_f32 v21, v21, v37, 1.0
	v_cmp_eq_u32_e32 vcc_lo, 0, v23
	v_fmaak_f32 v43, v30, v43, 0x3d2aabf7
	v_fmaak_f32 v41, v27, v41, 0xbf000004
	v_fma_f32 v25, v25, v39, 1.0
	v_dual_fmaak_f32 v47, s27, v34, 0xbab64f3b :: v_dual_fmac_f32 v12, v12, v40
	s_wait_alu 0xfffd
	v_cndmask_b32_e32 v18, v21, v18, vcc_lo
	v_cmp_eq_u32_e32 vcc_lo, 0, v26
	v_fmaak_f32 v43, v30, v43, 0xbf000004
	v_fma_f32 v27, v27, v41, 1.0
	v_xor_b32_e32 v5, v5, v4
	v_cmp_class_f32_e64 s3, v4, 0x1f8
	s_wait_alu 0xfffd
	v_cndmask_b32_e64 v14, -v14, v25, vcc_lo
	v_cmp_eq_u32_e32 vcc_lo, 0, v29
	v_fmaak_f32 v47, v34, v47, 0x3d2aabf7
	v_fma_f32 v30, v30, v43, 1.0
	v_xor_b32_e32 v17, v17, v15
	v_xor_b32_e32 v11, v11, v9
	s_wait_alu 0xfffd
	v_cndmask_b32_e32 v12, v27, v12, vcc_lo
	v_cmp_eq_u32_e32 vcc_lo, 0, v31
	v_cmp_class_f32_e64 s4, v15, 0x1f8
	v_xor3_b32 v17, v17, v19, v18
	s_add_co_i32 s28, s5, 0x100
	s_add_co_i32 s5, s5, 48
	s_wait_alu 0xfffd
	v_cndmask_b32_e64 v8, -v8, v30, vcc_lo
	v_cmp_eq_u32_e32 vcc_lo, 0, v33
	scratch_store_b32 off, v3, s7
	s_add_co_i32 s7, s7, 4
	s_wait_alu 0xfffe
	s_cmp_lg_u32 s5, 0xc00
	s_wait_alu 0xfffd
	v_cndmask_b32_e32 v6, v32, v6, vcc_lo
	v_cmp_eq_u32_e32 vcc_lo, 0, v35
	s_delay_alu instid0(VALU_DEP_2) | instskip(SKIP_2) | instid1(VALU_DEP_3)
	v_xor3_b32 v4, v5, v7, v6
	v_cndmask_b32_e64 v5, 0x7fc00000, v17, s4
	v_and_b32_e32 v22, 0x80000000, v22
	v_cndmask_b32_e64 v4, 0x7fc00000, v4, s3
	v_fmaak_f32 v47, v34, v47, 0xbf000004
	s_delay_alu instid0(VALU_DEP_1) | instskip(SKIP_1) | instid1(VALU_DEP_1)
	v_fma_f32 v34, v34, v47, 1.0
	s_wait_alu 0xfffd
	v_cndmask_b32_e64 v2, -v2, v34, vcc_lo
	v_cmp_class_f32_e64 vcc_lo, v9, 0x1f8
	v_xor3_b32 v9, v11, v13, v12
	s_delay_alu instid0(VALU_DEP_3) | instskip(SKIP_1) | instid1(VALU_DEP_2)
	v_xor_b32_e32 v2, v22, v2
	s_wait_alu 0xfffd
	v_cndmask_b32_e32 v7, 0x7fc00000, v9, vcc_lo
	v_and_b32_e32 v10, 0x80000000, v10
	s_delay_alu instid0(VALU_DEP_3) | instskip(NEXT) | instid1(VALU_DEP_3)
	v_cndmask_b32_e64 v2, 0x7fc00000, v2, s4
	v_dual_mul_f32 v9, v4, v7 :: v_dual_and_b32 v16, 0x80000000, v16
	s_delay_alu instid0(VALU_DEP_3) | instskip(SKIP_1) | instid1(VALU_DEP_4)
	v_xor_b32_e32 v8, v10, v8
	v_xor_b32_e32 v25, 0x80000000, v7
	v_mul_f32_e32 v12, v4, v2
	s_delay_alu instid0(VALU_DEP_4) | instskip(NEXT) | instid1(VALU_DEP_4)
	v_xor_b32_e32 v14, v16, v14
	v_cndmask_b32_e64 v8, 0x7fc00000, v8, s3
	s_delay_alu instid0(VALU_DEP_2) | instskip(SKIP_1) | instid1(VALU_DEP_3)
	v_cndmask_b32_e32 v6, 0x7fc00000, v14, vcc_lo
	v_add_co_u32 v0, vcc_lo, v0, s6
	v_mul_f32_e32 v10, v8, v7
	v_mul_f32_e32 v11, v8, v5
	v_mul_f32_e32 v22, v8, v2
	s_wait_alu 0xfffd
	v_add_co_ci_u32_e64 v1, null, 0, v1, vcc_lo
	v_mul_f32_e32 v19, v10, v2
	v_mul_f32_e32 v17, v6, v2
	v_fma_f32 v18, v9, v2, -v11
	v_mul_f32_e32 v21, v6, v5
	v_fmac_f32_e32 v22, v9, v5
	v_fmac_f32_e32 v19, v4, v5
	v_fma_f32 v23, v10, v5, -v12
	v_mul_f32_e32 v26, v4, v6
	v_mul_f32_e32 v27, v8, v6
	s_wait_loadcnt 0x2
	scratch_store_b128 off, v[17:20], s28
	s_wait_loadcnt 0x1
	scratch_store_b128 off, v[21:24], s28 offset:16
	s_wait_loadcnt 0x0
	scratch_store_b128 off, v[25:28], s28 offset:32
	s_cbranch_scc0 .LBB6_26
.LBB6_2:                                ; =>This Inner Loop Header: Depth=1
	s_delay_alu instid0(VALU_DEP_1) | instskip(SKIP_1) | instid1(VALU_DEP_2)
	v_add_co_u32 v4, vcc_lo, s12, v0
	s_wait_alu 0xfffd
	v_add_co_ci_u32_e64 v5, null, s13, v1, vcc_lo
                                        ; implicit-def: $vgpr7
                                        ; implicit-def: $vgpr6
	global_load_b32 v4, v[4:5], off
	s_wait_loadcnt 0x0
	v_and_b32_e32 v5, 0x7fffffff, v4
	v_cmp_ngt_f32_e64 s28, 0x48000000, |v4|
	s_delay_alu instid0(VALU_DEP_2) | instskip(SKIP_1) | instid1(VALU_DEP_2)
	v_lshrrev_b32_e32 v2, 23, v5
	v_and_or_b32 v9, v5, s25, 0x800000
	v_add_nc_u32_e32 v11, 0xffffff88, v2
	s_and_saveexec_b32 s3, s28
	s_wait_alu 0xfffe
	s_xor_b32 s29, exec_lo, s3
	s_cbranch_execz .LBB6_4
; %bb.3:                                ;   in Loop: Header=BB6_2 Depth=1
	v_mad_co_u64_u32 v[6:7], null, 0xfe5163ab, v9, 0
	v_cmp_lt_u32_e32 vcc_lo, 63, v11
	s_delay_alu instid0(VALU_DEP_2) | instskip(NEXT) | instid1(VALU_DEP_1)
	v_mov_b32_e32 v2, v7
	v_mad_co_u64_u32 v[7:8], null, 0x3c439041, v9, v[2:3]
	s_delay_alu instid0(VALU_DEP_1) | instskip(SKIP_2) | instid1(VALU_DEP_2)
	v_mov_b32_e32 v2, v8
	s_wait_alu 0xfffd
	v_cndmask_b32_e64 v8, 0, 0xffffffc0, vcc_lo
	v_mad_co_u64_u32 v[12:13], null, 0xdb629599, v9, v[2:3]
	s_delay_alu instid0(VALU_DEP_2) | instskip(NEXT) | instid1(VALU_DEP_1)
	v_add_nc_u32_e32 v8, v8, v11
	v_cmp_lt_u32_e64 s3, 31, v8
	s_delay_alu instid0(VALU_DEP_3) | instskip(NEXT) | instid1(VALU_DEP_4)
	v_mov_b32_e32 v2, v13
	v_cndmask_b32_e32 v6, v12, v6, vcc_lo
	s_wait_alu 0xf1ff
	s_delay_alu instid0(VALU_DEP_3) | instskip(NEXT) | instid1(VALU_DEP_3)
	v_cndmask_b32_e64 v10, 0, 0xffffffe0, s3
	v_mad_co_u64_u32 v[13:14], null, 0xf534ddc0, v9, v[2:3]
	s_delay_alu instid0(VALU_DEP_2) | instskip(NEXT) | instid1(VALU_DEP_2)
	v_add_nc_u32_e32 v8, v10, v8
	v_mov_b32_e32 v2, v14
	s_delay_alu instid0(VALU_DEP_2) | instskip(NEXT) | instid1(VALU_DEP_4)
	v_cmp_lt_u32_e64 s4, 31, v8
	v_cndmask_b32_e32 v7, v13, v7, vcc_lo
	s_delay_alu instid0(VALU_DEP_3) | instskip(NEXT) | instid1(VALU_DEP_2)
	v_mad_co_u64_u32 v[14:15], null, 0xfc2757d1, v9, v[2:3]
	v_cndmask_b32_e64 v6, v7, v6, s3
	s_delay_alu instid0(VALU_DEP_2) | instskip(NEXT) | instid1(VALU_DEP_1)
	v_mov_b32_e32 v2, v15
	v_mad_co_u64_u32 v[15:16], null, 0x4e441529, v9, v[2:3]
	s_delay_alu instid0(VALU_DEP_1) | instskip(NEXT) | instid1(VALU_DEP_2)
	v_mov_b32_e32 v2, v16
	v_cndmask_b32_e32 v10, v15, v13, vcc_lo
	s_delay_alu instid0(VALU_DEP_2) | instskip(SKIP_2) | instid1(VALU_DEP_1)
	v_mad_co_u64_u32 v[16:17], null, 0xa2f9836e, v9, v[2:3]
	s_wait_alu 0xf1ff
	v_cndmask_b32_e64 v2, 0, 0xffffffe0, s4
	v_add_nc_u32_e32 v2, v2, v8
	s_delay_alu instid0(VALU_DEP_3) | instskip(SKIP_1) | instid1(VALU_DEP_3)
	v_dual_cndmask_b32 v16, v16, v14 :: v_dual_cndmask_b32 v15, v17, v15
	v_cndmask_b32_e32 v14, v14, v12, vcc_lo
	v_cmp_eq_u32_e32 vcc_lo, 0, v2
	s_delay_alu instid0(VALU_DEP_3) | instskip(NEXT) | instid1(VALU_DEP_4)
	v_cndmask_b32_e64 v8, v16, v10, s3
	v_cndmask_b32_e64 v13, v15, v16, s3
	s_delay_alu instid0(VALU_DEP_4) | instskip(SKIP_2) | instid1(VALU_DEP_4)
	v_cndmask_b32_e64 v10, v10, v14, s3
	v_sub_nc_u32_e32 v15, 32, v2
	v_cndmask_b32_e64 v14, v14, v7, s3
	v_cndmask_b32_e64 v13, v13, v8, s4
	s_delay_alu instid0(VALU_DEP_4) | instskip(NEXT) | instid1(VALU_DEP_3)
	v_cndmask_b32_e64 v8, v8, v10, s4
	v_cndmask_b32_e64 v10, v10, v14, s4
	;; [unrolled: 1-line block ×3, first 2 shown]
	s_delay_alu instid0(VALU_DEP_3) | instskip(NEXT) | instid1(VALU_DEP_3)
	v_alignbit_b32 v16, v13, v8, v15
	v_alignbit_b32 v12, v8, v10, v15
	s_delay_alu instid0(VALU_DEP_3) | instskip(SKIP_1) | instid1(VALU_DEP_3)
	v_alignbit_b32 v14, v10, v6, v15
	s_wait_alu 0xfffd
	v_cndmask_b32_e32 v2, v16, v13, vcc_lo
	s_delay_alu instid0(VALU_DEP_2) | instskip(NEXT) | instid1(VALU_DEP_2)
	v_dual_cndmask_b32 v7, v12, v8 :: v_dual_cndmask_b32 v10, v14, v10
	v_bfe_u32 v8, v2, 29, 1
	s_delay_alu instid0(VALU_DEP_2) | instskip(NEXT) | instid1(VALU_DEP_3)
	v_alignbit_b32 v12, v2, v7, 30
	v_alignbit_b32 v7, v7, v10, 30
	;; [unrolled: 1-line block ×3, first 2 shown]
	s_delay_alu instid0(VALU_DEP_4) | instskip(NEXT) | instid1(VALU_DEP_1)
	v_sub_nc_u32_e32 v13, 0, v8
	v_xor_b32_e32 v12, v12, v13
	s_delay_alu instid0(VALU_DEP_4) | instskip(NEXT) | instid1(VALU_DEP_4)
	v_xor_b32_e32 v7, v7, v13
	v_xor_b32_e32 v6, v6, v13
	v_lshrrev_b32_e32 v13, 29, v2
	v_lshrrev_b32_e32 v2, 30, v2
	v_clz_i32_u32_e32 v14, v12
	s_delay_alu instid0(VALU_DEP_1) | instskip(NEXT) | instid1(VALU_DEP_1)
	v_min_u32_e32 v14, 32, v14
	v_sub_nc_u32_e32 v10, 31, v14
	v_lshlrev_b32_e32 v15, 23, v14
	s_delay_alu instid0(VALU_DEP_2) | instskip(SKIP_2) | instid1(VALU_DEP_2)
	v_alignbit_b32 v12, v12, v7, v10
	v_alignbit_b32 v6, v7, v6, v10
	v_lshlrev_b32_e32 v7, 31, v13
	v_alignbit_b32 v10, v12, v6, 9
	s_delay_alu instid0(VALU_DEP_2) | instskip(SKIP_2) | instid1(VALU_DEP_4)
	v_or_b32_e32 v13, 0.5, v7
	v_lshrrev_b32_e32 v12, 9, v12
	v_or_b32_e32 v7, 0x33000000, v7
	v_clz_i32_u32_e32 v16, v10
	s_delay_alu instid0(VALU_DEP_4) | instskip(NEXT) | instid1(VALU_DEP_2)
	v_sub_nc_u32_e32 v13, v13, v15
	v_min_u32_e32 v15, 32, v16
	s_delay_alu instid0(VALU_DEP_2) | instskip(NEXT) | instid1(VALU_DEP_2)
	v_or_b32_e32 v12, v12, v13
	v_not_b32_e32 v13, v15
	s_delay_alu instid0(VALU_DEP_2) | instskip(SKIP_1) | instid1(VALU_DEP_3)
	v_mul_f32_e32 v16, 0x3fc90fda, v12
	v_add_lshl_u32 v14, v15, v14, 23
	v_alignbit_b32 v6, v10, v6, v13
	s_delay_alu instid0(VALU_DEP_3) | instskip(NEXT) | instid1(VALU_DEP_3)
	v_fma_f32 v10, 0x3fc90fda, v12, -v16
	v_sub_nc_u32_e32 v7, v7, v14
	s_delay_alu instid0(VALU_DEP_3) | instskip(NEXT) | instid1(VALU_DEP_3)
	v_lshrrev_b32_e32 v6, 9, v6
	v_fmac_f32_e32 v10, 0x33a22168, v12
	s_delay_alu instid0(VALU_DEP_2) | instskip(SKIP_1) | instid1(VALU_DEP_2)
	v_or_b32_e32 v6, v7, v6
	v_add_nc_u32_e32 v7, v8, v2
	v_fmac_f32_e32 v10, 0x3fc90fda, v6
	s_delay_alu instid0(VALU_DEP_1)
	v_add_f32_e32 v6, v16, v10
.LBB6_4:                                ;   in Loop: Header=BB6_2 Depth=1
	s_or_saveexec_b32 s3, s29
	v_mul_f32_e64 v2, 0x3f22f983, |v4|
	s_delay_alu instid0(VALU_DEP_1)
	v_rndne_f32_e32 v2, v2
	s_wait_alu 0xfffe
	s_xor_b32 exec_lo, exec_lo, s3
; %bb.5:                                ;   in Loop: Header=BB6_2 Depth=1
	s_delay_alu instid0(VALU_DEP_1) | instskip(SKIP_1) | instid1(VALU_DEP_2)
	v_fma_f32 v6, 0xbfc90fda, v2, |v4|
	v_cvt_i32_f32_e32 v7, v2
	v_fmac_f32_e32 v6, 0xb3a22168, v2
	s_delay_alu instid0(VALU_DEP_1)
	v_fmac_f32_e32 v6, 0xa7c234c4, v2
; %bb.6:                                ;   in Loop: Header=BB6_2 Depth=1
	s_or_b32 exec_lo, exec_lo, s3
                                        ; implicit-def: $vgpr10
                                        ; implicit-def: $vgpr8
	s_and_saveexec_b32 s3, s28
	s_wait_alu 0xfffe
	s_xor_b32 s28, exec_lo, s3
	s_cbranch_execz .LBB6_8
; %bb.7:                                ;   in Loop: Header=BB6_2 Depth=1
	v_mad_co_u64_u32 v[12:13], null, 0xfe5163ab, v9, 0
	v_cmp_lt_u32_e32 vcc_lo, 63, v11
	s_wait_alu 0xfffd
	v_cndmask_b32_e64 v8, 0, 0xffffffc0, vcc_lo
	s_delay_alu instid0(VALU_DEP_3) | instskip(NEXT) | instid1(VALU_DEP_2)
	v_mov_b32_e32 v2, v13
	v_add_nc_u32_e32 v8, v8, v11
	s_delay_alu instid0(VALU_DEP_2) | instskip(NEXT) | instid1(VALU_DEP_2)
	v_mad_co_u64_u32 v[13:14], null, 0x3c439041, v9, v[2:3]
	v_cmp_lt_u32_e64 s3, 31, v8
	s_delay_alu instid0(VALU_DEP_2) | instskip(NEXT) | instid1(VALU_DEP_1)
	v_mov_b32_e32 v2, v14
	v_mad_co_u64_u32 v[14:15], null, 0xdb629599, v9, v[2:3]
	s_delay_alu instid0(VALU_DEP_1) | instskip(NEXT) | instid1(VALU_DEP_2)
	v_mov_b32_e32 v2, v15
	v_cndmask_b32_e32 v12, v14, v12, vcc_lo
	s_delay_alu instid0(VALU_DEP_2) | instskip(NEXT) | instid1(VALU_DEP_1)
	v_mad_co_u64_u32 v[15:16], null, 0xf534ddc0, v9, v[2:3]
	v_mov_b32_e32 v2, v16
	s_delay_alu instid0(VALU_DEP_1) | instskip(NEXT) | instid1(VALU_DEP_1)
	v_mad_co_u64_u32 v[16:17], null, 0xfc2757d1, v9, v[2:3]
	v_mov_b32_e32 v2, v17
	s_wait_alu 0xf1ff
	v_cndmask_b32_e64 v17, 0, 0xffffffe0, s3
	s_delay_alu instid0(VALU_DEP_2) | instskip(NEXT) | instid1(VALU_DEP_1)
	v_mad_co_u64_u32 v[10:11], null, 0x4e441529, v9, v[2:3]
	v_dual_mov_b32 v2, v11 :: v_dual_add_nc_u32 v11, v17, v8
	s_delay_alu instid0(VALU_DEP_2) | instskip(NEXT) | instid1(VALU_DEP_2)
	v_cndmask_b32_e32 v17, v10, v15, vcc_lo
	v_mad_co_u64_u32 v[8:9], null, 0xa2f9836e, v9, v[2:3]
	s_delay_alu instid0(VALU_DEP_3) | instskip(SKIP_1) | instid1(VALU_DEP_1)
	v_cmp_lt_u32_e64 s4, 31, v11
	s_wait_alu 0xf1ff
	v_cndmask_b32_e64 v2, 0, 0xffffffe0, s4
	s_delay_alu instid0(VALU_DEP_3) | instskip(SKIP_1) | instid1(VALU_DEP_3)
	v_dual_cndmask_b32 v8, v8, v16 :: v_dual_cndmask_b32 v9, v9, v10
	v_cndmask_b32_e32 v10, v16, v14, vcc_lo
	v_dual_cndmask_b32 v11, v15, v13 :: v_dual_add_nc_u32 v2, v2, v11
	s_delay_alu instid0(VALU_DEP_3) | instskip(NEXT) | instid1(VALU_DEP_4)
	v_cndmask_b32_e64 v13, v8, v17, s3
	v_cndmask_b32_e64 v8, v9, v8, s3
	s_delay_alu instid0(VALU_DEP_4) | instskip(NEXT) | instid1(VALU_DEP_4)
	v_cndmask_b32_e64 v9, v17, v10, s3
	v_sub_nc_u32_e32 v15, 32, v2
	v_cndmask_b32_e64 v10, v10, v11, s3
	v_cmp_eq_u32_e32 vcc_lo, 0, v2
	v_cndmask_b32_e64 v8, v8, v13, s4
	v_cndmask_b32_e64 v13, v13, v9, s4
	s_delay_alu instid0(VALU_DEP_4) | instskip(NEXT) | instid1(VALU_DEP_2)
	v_cndmask_b32_e64 v9, v9, v10, s4
	v_alignbit_b32 v16, v8, v13, v15
	s_delay_alu instid0(VALU_DEP_2) | instskip(SKIP_1) | instid1(VALU_DEP_2)
	v_alignbit_b32 v14, v13, v9, v15
	s_wait_alu 0xfffd
	v_cndmask_b32_e32 v2, v16, v8, vcc_lo
	v_cndmask_b32_e64 v8, v11, v12, s3
	s_delay_alu instid0(VALU_DEP_3) | instskip(NEXT) | instid1(VALU_DEP_3)
	v_cndmask_b32_e32 v11, v14, v13, vcc_lo
	v_bfe_u32 v12, v2, 29, 1
	s_delay_alu instid0(VALU_DEP_3) | instskip(NEXT) | instid1(VALU_DEP_3)
	v_cndmask_b32_e64 v8, v10, v8, s4
	v_alignbit_b32 v10, v2, v11, 30
	s_delay_alu instid0(VALU_DEP_3) | instskip(NEXT) | instid1(VALU_DEP_3)
	v_sub_nc_u32_e32 v13, 0, v12
	v_alignbit_b32 v14, v9, v8, v15
	s_delay_alu instid0(VALU_DEP_2) | instskip(NEXT) | instid1(VALU_DEP_2)
	v_xor_b32_e32 v10, v10, v13
	v_cndmask_b32_e32 v9, v14, v9, vcc_lo
	s_delay_alu instid0(VALU_DEP_2) | instskip(NEXT) | instid1(VALU_DEP_2)
	v_clz_i32_u32_e32 v14, v10
	v_alignbit_b32 v11, v11, v9, 30
	v_alignbit_b32 v8, v9, v8, 30
	s_delay_alu instid0(VALU_DEP_3) | instskip(NEXT) | instid1(VALU_DEP_3)
	v_min_u32_e32 v14, 32, v14
	v_xor_b32_e32 v9, v11, v13
	s_delay_alu instid0(VALU_DEP_3) | instskip(SKIP_4) | instid1(VALU_DEP_2)
	v_xor_b32_e32 v8, v8, v13
	v_lshrrev_b32_e32 v13, 29, v2
	v_lshrrev_b32_e32 v2, 30, v2
	v_sub_nc_u32_e32 v11, 31, v14
	v_lshlrev_b32_e32 v15, 23, v14
	v_alignbit_b32 v10, v10, v9, v11
	v_alignbit_b32 v8, v9, v8, v11
	v_lshlrev_b32_e32 v9, 31, v13
	s_delay_alu instid0(VALU_DEP_2) | instskip(NEXT) | instid1(VALU_DEP_2)
	v_alignbit_b32 v11, v10, v8, 9
	v_or_b32_e32 v13, 0.5, v9
	v_lshrrev_b32_e32 v10, 9, v10
	v_or_b32_e32 v9, 0x33000000, v9
	s_delay_alu instid0(VALU_DEP_4) | instskip(NEXT) | instid1(VALU_DEP_4)
	v_clz_i32_u32_e32 v16, v11
	v_sub_nc_u32_e32 v13, v13, v15
	s_delay_alu instid0(VALU_DEP_2) | instskip(NEXT) | instid1(VALU_DEP_2)
	v_min_u32_e32 v15, 32, v16
	v_or_b32_e32 v10, v10, v13
	s_delay_alu instid0(VALU_DEP_2) | instskip(NEXT) | instid1(VALU_DEP_2)
	v_not_b32_e32 v13, v15
	v_mul_f32_e32 v16, 0x3fc90fda, v10
	v_add_lshl_u32 v14, v15, v14, 23
	s_delay_alu instid0(VALU_DEP_3) | instskip(NEXT) | instid1(VALU_DEP_3)
	v_alignbit_b32 v8, v11, v8, v13
	v_fma_f32 v11, 0x3fc90fda, v10, -v16
	s_delay_alu instid0(VALU_DEP_3) | instskip(NEXT) | instid1(VALU_DEP_3)
	v_sub_nc_u32_e32 v9, v9, v14
	v_lshrrev_b32_e32 v8, 9, v8
	s_delay_alu instid0(VALU_DEP_3) | instskip(SKIP_1) | instid1(VALU_DEP_3)
	v_fmac_f32_e32 v11, 0x33a22168, v10
	v_add_nc_u32_e32 v10, v12, v2
                                        ; implicit-def: $vgpr2
	v_or_b32_e32 v8, v9, v8
	s_delay_alu instid0(VALU_DEP_1) | instskip(NEXT) | instid1(VALU_DEP_1)
	v_fmac_f32_e32 v11, 0x3fc90fda, v8
	v_add_f32_e32 v8, v16, v11
	s_and_not1_saveexec_b32 s3, s28
	s_cbranch_execnz .LBB6_9
	s_branch .LBB6_10
.LBB6_8:                                ;   in Loop: Header=BB6_2 Depth=1
	s_and_not1_saveexec_b32 s3, s28
.LBB6_9:                                ;   in Loop: Header=BB6_2 Depth=1
	v_fma_f32 v8, 0xbfc90fda, v2, |v4|
	v_cvt_i32_f32_e32 v10, v2
	s_delay_alu instid0(VALU_DEP_2) | instskip(NEXT) | instid1(VALU_DEP_1)
	v_fmac_f32_e32 v8, 0xb3a22168, v2
	v_fmac_f32_e32 v8, 0xa7c234c4, v2
.LBB6_10:                               ;   in Loop: Header=BB6_2 Depth=1
	s_wait_alu 0xfffe
	s_or_b32 exec_lo, exec_lo, s3
	v_add_co_u32 v11, vcc_lo, s14, v0
	s_wait_alu 0xfffd
	v_add_co_ci_u32_e64 v12, null, s15, v1, vcc_lo
                                        ; implicit-def: $vgpr13
	global_load_b32 v9, v[11:12], off
                                        ; implicit-def: $vgpr12
	s_wait_loadcnt 0x0
	v_and_b32_e32 v11, 0x7fffffff, v9
	v_cmp_ngt_f32_e64 s28, 0x48000000, |v9|
	s_delay_alu instid0(VALU_DEP_2) | instskip(SKIP_1) | instid1(VALU_DEP_2)
	v_lshrrev_b32_e32 v2, 23, v11
	v_and_or_b32 v15, v11, s25, 0x800000
	v_add_nc_u32_e32 v17, 0xffffff88, v2
	s_and_saveexec_b32 s3, s28
	s_wait_alu 0xfffe
	s_xor_b32 s29, exec_lo, s3
	s_cbranch_execz .LBB6_12
; %bb.11:                               ;   in Loop: Header=BB6_2 Depth=1
	v_mad_co_u64_u32 v[12:13], null, 0xfe5163ab, v15, 0
	v_cmp_lt_u32_e32 vcc_lo, 63, v17
	s_delay_alu instid0(VALU_DEP_2) | instskip(NEXT) | instid1(VALU_DEP_1)
	v_mov_b32_e32 v2, v13
	v_mad_co_u64_u32 v[13:14], null, 0x3c439041, v15, v[2:3]
	s_delay_alu instid0(VALU_DEP_1) | instskip(SKIP_2) | instid1(VALU_DEP_2)
	v_mov_b32_e32 v2, v14
	s_wait_alu 0xfffd
	v_cndmask_b32_e64 v14, 0, 0xffffffc0, vcc_lo
	v_mad_co_u64_u32 v[18:19], null, 0xdb629599, v15, v[2:3]
	s_delay_alu instid0(VALU_DEP_2) | instskip(NEXT) | instid1(VALU_DEP_1)
	v_add_nc_u32_e32 v14, v14, v17
	v_cmp_lt_u32_e64 s3, 31, v14
	s_delay_alu instid0(VALU_DEP_3) | instskip(NEXT) | instid1(VALU_DEP_4)
	v_mov_b32_e32 v2, v19
	v_cndmask_b32_e32 v12, v18, v12, vcc_lo
	s_wait_alu 0xf1ff
	s_delay_alu instid0(VALU_DEP_3) | instskip(NEXT) | instid1(VALU_DEP_3)
	v_cndmask_b32_e64 v16, 0, 0xffffffe0, s3
	v_mad_co_u64_u32 v[19:20], null, 0xf534ddc0, v15, v[2:3]
	s_delay_alu instid0(VALU_DEP_2) | instskip(NEXT) | instid1(VALU_DEP_2)
	v_add_nc_u32_e32 v14, v16, v14
	v_mov_b32_e32 v2, v20
	s_delay_alu instid0(VALU_DEP_2) | instskip(NEXT) | instid1(VALU_DEP_4)
	v_cmp_lt_u32_e64 s4, 31, v14
	v_cndmask_b32_e32 v13, v19, v13, vcc_lo
	s_delay_alu instid0(VALU_DEP_3) | instskip(NEXT) | instid1(VALU_DEP_2)
	v_mad_co_u64_u32 v[20:21], null, 0xfc2757d1, v15, v[2:3]
	v_cndmask_b32_e64 v12, v13, v12, s3
	s_delay_alu instid0(VALU_DEP_2) | instskip(NEXT) | instid1(VALU_DEP_1)
	v_mov_b32_e32 v2, v21
	v_mad_co_u64_u32 v[21:22], null, 0x4e441529, v15, v[2:3]
	s_delay_alu instid0(VALU_DEP_1) | instskip(NEXT) | instid1(VALU_DEP_2)
	v_mov_b32_e32 v2, v22
	v_cndmask_b32_e32 v16, v21, v19, vcc_lo
	s_delay_alu instid0(VALU_DEP_2) | instskip(SKIP_2) | instid1(VALU_DEP_1)
	v_mad_co_u64_u32 v[22:23], null, 0xa2f9836e, v15, v[2:3]
	s_wait_alu 0xf1ff
	v_cndmask_b32_e64 v2, 0, 0xffffffe0, s4
	v_add_nc_u32_e32 v2, v2, v14
	s_delay_alu instid0(VALU_DEP_3) | instskip(SKIP_1) | instid1(VALU_DEP_3)
	v_dual_cndmask_b32 v22, v22, v20 :: v_dual_cndmask_b32 v21, v23, v21
	v_cndmask_b32_e32 v20, v20, v18, vcc_lo
	v_cmp_eq_u32_e32 vcc_lo, 0, v2
	s_delay_alu instid0(VALU_DEP_3) | instskip(NEXT) | instid1(VALU_DEP_4)
	v_cndmask_b32_e64 v14, v22, v16, s3
	v_cndmask_b32_e64 v19, v21, v22, s3
	s_delay_alu instid0(VALU_DEP_4) | instskip(SKIP_2) | instid1(VALU_DEP_4)
	v_cndmask_b32_e64 v16, v16, v20, s3
	v_sub_nc_u32_e32 v21, 32, v2
	v_cndmask_b32_e64 v20, v20, v13, s3
	v_cndmask_b32_e64 v19, v19, v14, s4
	s_delay_alu instid0(VALU_DEP_4) | instskip(NEXT) | instid1(VALU_DEP_3)
	v_cndmask_b32_e64 v14, v14, v16, s4
	v_cndmask_b32_e64 v16, v16, v20, s4
	;; [unrolled: 1-line block ×3, first 2 shown]
	s_delay_alu instid0(VALU_DEP_3) | instskip(NEXT) | instid1(VALU_DEP_3)
	v_alignbit_b32 v22, v19, v14, v21
	v_alignbit_b32 v18, v14, v16, v21
	s_delay_alu instid0(VALU_DEP_3) | instskip(SKIP_1) | instid1(VALU_DEP_3)
	v_alignbit_b32 v20, v16, v12, v21
	s_wait_alu 0xfffd
	v_cndmask_b32_e32 v2, v22, v19, vcc_lo
	s_delay_alu instid0(VALU_DEP_2) | instskip(NEXT) | instid1(VALU_DEP_2)
	v_dual_cndmask_b32 v13, v18, v14 :: v_dual_cndmask_b32 v16, v20, v16
	v_bfe_u32 v14, v2, 29, 1
	s_delay_alu instid0(VALU_DEP_2) | instskip(NEXT) | instid1(VALU_DEP_3)
	v_alignbit_b32 v18, v2, v13, 30
	v_alignbit_b32 v13, v13, v16, 30
	;; [unrolled: 1-line block ×3, first 2 shown]
	s_delay_alu instid0(VALU_DEP_4) | instskip(NEXT) | instid1(VALU_DEP_1)
	v_sub_nc_u32_e32 v19, 0, v14
	v_xor_b32_e32 v18, v18, v19
	s_delay_alu instid0(VALU_DEP_4) | instskip(NEXT) | instid1(VALU_DEP_4)
	v_xor_b32_e32 v13, v13, v19
	v_xor_b32_e32 v12, v12, v19
	v_lshrrev_b32_e32 v19, 29, v2
	v_lshrrev_b32_e32 v2, 30, v2
	v_clz_i32_u32_e32 v20, v18
	s_delay_alu instid0(VALU_DEP_1) | instskip(NEXT) | instid1(VALU_DEP_1)
	v_min_u32_e32 v20, 32, v20
	v_sub_nc_u32_e32 v16, 31, v20
	v_lshlrev_b32_e32 v21, 23, v20
	s_delay_alu instid0(VALU_DEP_2) | instskip(SKIP_2) | instid1(VALU_DEP_2)
	v_alignbit_b32 v18, v18, v13, v16
	v_alignbit_b32 v12, v13, v12, v16
	v_lshlrev_b32_e32 v13, 31, v19
	v_alignbit_b32 v16, v18, v12, 9
	s_delay_alu instid0(VALU_DEP_2) | instskip(SKIP_2) | instid1(VALU_DEP_4)
	v_or_b32_e32 v19, 0.5, v13
	v_lshrrev_b32_e32 v18, 9, v18
	v_or_b32_e32 v13, 0x33000000, v13
	v_clz_i32_u32_e32 v22, v16
	s_delay_alu instid0(VALU_DEP_4) | instskip(NEXT) | instid1(VALU_DEP_2)
	v_sub_nc_u32_e32 v19, v19, v21
	v_min_u32_e32 v21, 32, v22
	s_delay_alu instid0(VALU_DEP_2) | instskip(NEXT) | instid1(VALU_DEP_2)
	v_or_b32_e32 v18, v18, v19
	v_not_b32_e32 v19, v21
	s_delay_alu instid0(VALU_DEP_2) | instskip(SKIP_1) | instid1(VALU_DEP_3)
	v_mul_f32_e32 v22, 0x3fc90fda, v18
	v_add_lshl_u32 v20, v21, v20, 23
	v_alignbit_b32 v12, v16, v12, v19
	s_delay_alu instid0(VALU_DEP_3) | instskip(NEXT) | instid1(VALU_DEP_3)
	v_fma_f32 v16, 0x3fc90fda, v18, -v22
	v_sub_nc_u32_e32 v13, v13, v20
	s_delay_alu instid0(VALU_DEP_3) | instskip(NEXT) | instid1(VALU_DEP_3)
	v_lshrrev_b32_e32 v12, 9, v12
	v_fmac_f32_e32 v16, 0x33a22168, v18
	s_delay_alu instid0(VALU_DEP_2) | instskip(NEXT) | instid1(VALU_DEP_1)
	v_or_b32_e32 v12, v13, v12
	v_dual_fmac_f32 v16, 0x3fc90fda, v12 :: v_dual_add_nc_u32 v13, v14, v2
	s_delay_alu instid0(VALU_DEP_1)
	v_add_f32_e32 v12, v22, v16
.LBB6_12:                               ;   in Loop: Header=BB6_2 Depth=1
	s_or_saveexec_b32 s3, s29
	v_mul_f32_e64 v2, 0x3f22f983, |v9|
	s_delay_alu instid0(VALU_DEP_1)
	v_rndne_f32_e32 v2, v2
	s_wait_alu 0xfffe
	s_xor_b32 exec_lo, exec_lo, s3
; %bb.13:                               ;   in Loop: Header=BB6_2 Depth=1
	s_delay_alu instid0(VALU_DEP_1) | instskip(SKIP_1) | instid1(VALU_DEP_2)
	v_fma_f32 v12, 0xbfc90fda, v2, |v9|
	v_cvt_i32_f32_e32 v13, v2
	v_fmac_f32_e32 v12, 0xb3a22168, v2
	s_delay_alu instid0(VALU_DEP_1)
	v_fmac_f32_e32 v12, 0xa7c234c4, v2
; %bb.14:                               ;   in Loop: Header=BB6_2 Depth=1
	s_or_b32 exec_lo, exec_lo, s3
                                        ; implicit-def: $vgpr16
                                        ; implicit-def: $vgpr14
	s_and_saveexec_b32 s3, s28
	s_wait_alu 0xfffe
	s_xor_b32 s28, exec_lo, s3
	s_cbranch_execz .LBB6_16
; %bb.15:                               ;   in Loop: Header=BB6_2 Depth=1
	v_mad_co_u64_u32 v[18:19], null, 0xfe5163ab, v15, 0
	v_cmp_lt_u32_e32 vcc_lo, 63, v17
	s_wait_alu 0xfffd
	v_cndmask_b32_e64 v14, 0, 0xffffffc0, vcc_lo
	s_delay_alu instid0(VALU_DEP_3) | instskip(NEXT) | instid1(VALU_DEP_2)
	v_mov_b32_e32 v2, v19
	v_add_nc_u32_e32 v14, v14, v17
	s_delay_alu instid0(VALU_DEP_2) | instskip(NEXT) | instid1(VALU_DEP_2)
	v_mad_co_u64_u32 v[19:20], null, 0x3c439041, v15, v[2:3]
	v_cmp_lt_u32_e64 s3, 31, v14
	s_delay_alu instid0(VALU_DEP_2) | instskip(NEXT) | instid1(VALU_DEP_1)
	v_mov_b32_e32 v2, v20
	v_mad_co_u64_u32 v[20:21], null, 0xdb629599, v15, v[2:3]
	s_delay_alu instid0(VALU_DEP_1) | instskip(NEXT) | instid1(VALU_DEP_2)
	v_mov_b32_e32 v2, v21
	v_cndmask_b32_e32 v18, v20, v18, vcc_lo
	s_delay_alu instid0(VALU_DEP_2) | instskip(NEXT) | instid1(VALU_DEP_1)
	v_mad_co_u64_u32 v[21:22], null, 0xf534ddc0, v15, v[2:3]
	v_mov_b32_e32 v2, v22
	s_delay_alu instid0(VALU_DEP_1) | instskip(NEXT) | instid1(VALU_DEP_1)
	v_mad_co_u64_u32 v[22:23], null, 0xfc2757d1, v15, v[2:3]
	v_mov_b32_e32 v2, v23
	s_wait_alu 0xf1ff
	v_cndmask_b32_e64 v23, 0, 0xffffffe0, s3
	s_delay_alu instid0(VALU_DEP_2) | instskip(NEXT) | instid1(VALU_DEP_1)
	v_mad_co_u64_u32 v[16:17], null, 0x4e441529, v15, v[2:3]
	v_dual_mov_b32 v2, v17 :: v_dual_add_nc_u32 v17, v23, v14
	s_delay_alu instid0(VALU_DEP_2) | instskip(NEXT) | instid1(VALU_DEP_2)
	v_cndmask_b32_e32 v23, v16, v21, vcc_lo
	v_mad_co_u64_u32 v[14:15], null, 0xa2f9836e, v15, v[2:3]
	s_delay_alu instid0(VALU_DEP_3) | instskip(SKIP_1) | instid1(VALU_DEP_1)
	v_cmp_lt_u32_e64 s4, 31, v17
	s_wait_alu 0xf1ff
	v_cndmask_b32_e64 v2, 0, 0xffffffe0, s4
	s_delay_alu instid0(VALU_DEP_3) | instskip(SKIP_1) | instid1(VALU_DEP_3)
	v_dual_cndmask_b32 v14, v14, v22 :: v_dual_cndmask_b32 v15, v15, v16
	v_cndmask_b32_e32 v16, v22, v20, vcc_lo
	v_dual_cndmask_b32 v17, v21, v19 :: v_dual_add_nc_u32 v2, v2, v17
	s_delay_alu instid0(VALU_DEP_3) | instskip(NEXT) | instid1(VALU_DEP_4)
	v_cndmask_b32_e64 v19, v14, v23, s3
	v_cndmask_b32_e64 v14, v15, v14, s3
	s_delay_alu instid0(VALU_DEP_4) | instskip(NEXT) | instid1(VALU_DEP_4)
	v_cndmask_b32_e64 v15, v23, v16, s3
	v_sub_nc_u32_e32 v21, 32, v2
	v_cndmask_b32_e64 v16, v16, v17, s3
	v_cmp_eq_u32_e32 vcc_lo, 0, v2
	v_cndmask_b32_e64 v14, v14, v19, s4
	v_cndmask_b32_e64 v19, v19, v15, s4
	s_delay_alu instid0(VALU_DEP_4) | instskip(NEXT) | instid1(VALU_DEP_2)
	v_cndmask_b32_e64 v15, v15, v16, s4
	v_alignbit_b32 v22, v14, v19, v21
	s_delay_alu instid0(VALU_DEP_2) | instskip(SKIP_1) | instid1(VALU_DEP_2)
	v_alignbit_b32 v20, v19, v15, v21
	s_wait_alu 0xfffd
	v_cndmask_b32_e32 v2, v22, v14, vcc_lo
	v_cndmask_b32_e64 v14, v17, v18, s3
	s_delay_alu instid0(VALU_DEP_3) | instskip(NEXT) | instid1(VALU_DEP_3)
	v_cndmask_b32_e32 v17, v20, v19, vcc_lo
	v_bfe_u32 v18, v2, 29, 1
	s_delay_alu instid0(VALU_DEP_3) | instskip(NEXT) | instid1(VALU_DEP_3)
	v_cndmask_b32_e64 v14, v16, v14, s4
	v_alignbit_b32 v16, v2, v17, 30
	s_delay_alu instid0(VALU_DEP_3) | instskip(NEXT) | instid1(VALU_DEP_3)
	v_sub_nc_u32_e32 v19, 0, v18
	v_alignbit_b32 v20, v15, v14, v21
	s_delay_alu instid0(VALU_DEP_2) | instskip(NEXT) | instid1(VALU_DEP_2)
	v_xor_b32_e32 v16, v16, v19
	v_cndmask_b32_e32 v15, v20, v15, vcc_lo
	s_delay_alu instid0(VALU_DEP_2) | instskip(NEXT) | instid1(VALU_DEP_2)
	v_clz_i32_u32_e32 v20, v16
	v_alignbit_b32 v17, v17, v15, 30
	v_alignbit_b32 v14, v15, v14, 30
	s_delay_alu instid0(VALU_DEP_3) | instskip(NEXT) | instid1(VALU_DEP_3)
	v_min_u32_e32 v20, 32, v20
	v_xor_b32_e32 v15, v17, v19
	s_delay_alu instid0(VALU_DEP_3) | instskip(SKIP_4) | instid1(VALU_DEP_2)
	v_xor_b32_e32 v14, v14, v19
	v_lshrrev_b32_e32 v19, 29, v2
	v_lshrrev_b32_e32 v2, 30, v2
	v_sub_nc_u32_e32 v17, 31, v20
	v_lshlrev_b32_e32 v21, 23, v20
	v_alignbit_b32 v16, v16, v15, v17
	v_alignbit_b32 v14, v15, v14, v17
	v_lshlrev_b32_e32 v15, 31, v19
	s_delay_alu instid0(VALU_DEP_2) | instskip(NEXT) | instid1(VALU_DEP_2)
	v_alignbit_b32 v17, v16, v14, 9
	v_or_b32_e32 v19, 0.5, v15
	v_lshrrev_b32_e32 v16, 9, v16
	v_or_b32_e32 v15, 0x33000000, v15
	s_delay_alu instid0(VALU_DEP_4) | instskip(NEXT) | instid1(VALU_DEP_4)
	v_clz_i32_u32_e32 v22, v17
	v_sub_nc_u32_e32 v19, v19, v21
	s_delay_alu instid0(VALU_DEP_2) | instskip(NEXT) | instid1(VALU_DEP_2)
	v_min_u32_e32 v21, 32, v22
	v_or_b32_e32 v16, v16, v19
	s_delay_alu instid0(VALU_DEP_2) | instskip(NEXT) | instid1(VALU_DEP_2)
	v_not_b32_e32 v19, v21
	v_mul_f32_e32 v22, 0x3fc90fda, v16
	v_add_lshl_u32 v20, v21, v20, 23
	s_delay_alu instid0(VALU_DEP_3) | instskip(NEXT) | instid1(VALU_DEP_3)
	v_alignbit_b32 v14, v17, v14, v19
	v_fma_f32 v17, 0x3fc90fda, v16, -v22
	s_delay_alu instid0(VALU_DEP_3) | instskip(NEXT) | instid1(VALU_DEP_3)
	v_sub_nc_u32_e32 v15, v15, v20
	v_lshrrev_b32_e32 v14, 9, v14
	s_delay_alu instid0(VALU_DEP_3) | instskip(NEXT) | instid1(VALU_DEP_2)
	v_dual_fmac_f32 v17, 0x33a22168, v16 :: v_dual_add_nc_u32 v16, v18, v2
                                        ; implicit-def: $vgpr2
	v_or_b32_e32 v14, v15, v14
	s_delay_alu instid0(VALU_DEP_1) | instskip(NEXT) | instid1(VALU_DEP_1)
	v_fmac_f32_e32 v17, 0x3fc90fda, v14
	v_add_f32_e32 v14, v22, v17
	s_and_not1_saveexec_b32 s3, s28
	s_cbranch_execnz .LBB6_17
	s_branch .LBB6_18
.LBB6_16:                               ;   in Loop: Header=BB6_2 Depth=1
	s_and_not1_saveexec_b32 s3, s28
.LBB6_17:                               ;   in Loop: Header=BB6_2 Depth=1
	v_fma_f32 v14, 0xbfc90fda, v2, |v9|
	v_cvt_i32_f32_e32 v16, v2
	s_delay_alu instid0(VALU_DEP_2) | instskip(NEXT) | instid1(VALU_DEP_1)
	v_fmac_f32_e32 v14, 0xb3a22168, v2
	v_fmac_f32_e32 v14, 0xa7c234c4, v2
.LBB6_18:                               ;   in Loop: Header=BB6_2 Depth=1
	s_wait_alu 0xfffe
	s_or_b32 exec_lo, exec_lo, s3
	v_add_co_u32 v17, vcc_lo, s16, v0
	s_wait_alu 0xfffd
	v_add_co_ci_u32_e64 v18, null, s17, v1, vcc_lo
                                        ; implicit-def: $vgpr19
	global_load_b32 v15, v[17:18], off
                                        ; implicit-def: $vgpr18
	s_wait_loadcnt 0x0
	v_and_b32_e32 v17, 0x7fffffff, v15
	v_cmp_ngt_f32_e64 s28, 0x48000000, |v15|
	s_delay_alu instid0(VALU_DEP_2) | instskip(SKIP_1) | instid1(VALU_DEP_2)
	v_lshrrev_b32_e32 v2, 23, v17
	v_and_or_b32 v20, v17, s25, 0x800000
	v_add_nc_u32_e32 v21, 0xffffff88, v2
	s_and_saveexec_b32 s3, s28
	s_wait_alu 0xfffe
	s_xor_b32 s29, exec_lo, s3
	s_cbranch_execz .LBB6_20
; %bb.19:                               ;   in Loop: Header=BB6_2 Depth=1
	v_mad_co_u64_u32 v[18:19], null, 0xfe5163ab, v20, 0
	v_cmp_lt_u32_e32 vcc_lo, 63, v21
	s_delay_alu instid0(VALU_DEP_2) | instskip(SKIP_2) | instid1(VALU_DEP_1)
	v_mov_b32_e32 v2, v19
	s_wait_alu 0xfffd
	v_cndmask_b32_e64 v19, 0, 0xffffffc0, vcc_lo
	v_add_nc_u32_e32 v19, v19, v21
	s_delay_alu instid0(VALU_DEP_1) | instskip(SKIP_1) | instid1(VALU_DEP_1)
	v_cmp_lt_u32_e64 s3, 31, v19
	s_wait_alu 0xf1ff
	v_cndmask_b32_e64 v28, 0, 0xffffffe0, s3
	s_delay_alu instid0(VALU_DEP_1) | instskip(SKIP_1) | instid1(VALU_DEP_2)
	v_add_nc_u32_e32 v19, v28, v19
	v_mad_co_u64_u32 v[22:23], null, 0x3c439041, v20, v[2:3]
	v_cmp_lt_u32_e64 s4, 31, v19
	s_delay_alu instid0(VALU_DEP_2) | instskip(NEXT) | instid1(VALU_DEP_1)
	v_mov_b32_e32 v2, v23
	v_mad_co_u64_u32 v[23:24], null, 0xdb629599, v20, v[2:3]
	s_delay_alu instid0(VALU_DEP_1) | instskip(NEXT) | instid1(VALU_DEP_2)
	v_mov_b32_e32 v2, v24
	v_cndmask_b32_e32 v18, v23, v18, vcc_lo
	s_delay_alu instid0(VALU_DEP_2) | instskip(NEXT) | instid1(VALU_DEP_1)
	v_mad_co_u64_u32 v[24:25], null, 0xf534ddc0, v20, v[2:3]
	v_mov_b32_e32 v2, v25
	s_delay_alu instid0(VALU_DEP_1) | instskip(NEXT) | instid1(VALU_DEP_1)
	v_mad_co_u64_u32 v[25:26], null, 0xfc2757d1, v20, v[2:3]
	v_mov_b32_e32 v2, v26
	s_delay_alu instid0(VALU_DEP_1) | instskip(NEXT) | instid1(VALU_DEP_1)
	v_mad_co_u64_u32 v[26:27], null, 0x4e441529, v20, v[2:3]
	v_dual_mov_b32 v2, v27 :: v_dual_cndmask_b32 v29, v26, v24
	s_delay_alu instid0(VALU_DEP_1) | instskip(SKIP_2) | instid1(VALU_DEP_1)
	v_mad_co_u64_u32 v[27:28], null, 0xa2f9836e, v20, v[2:3]
	s_wait_alu 0xf1ff
	v_cndmask_b32_e64 v2, 0, 0xffffffe0, s4
	v_dual_cndmask_b32 v27, v27, v25 :: v_dual_add_nc_u32 v2, v2, v19
	s_delay_alu instid0(VALU_DEP_3) | instskip(SKIP_1) | instid1(VALU_DEP_3)
	v_dual_cndmask_b32 v26, v28, v26 :: v_dual_cndmask_b32 v25, v25, v23
	v_cndmask_b32_e32 v19, v24, v22, vcc_lo
	v_cmp_eq_u32_e32 vcc_lo, 0, v2
	s_delay_alu instid0(VALU_DEP_4) | instskip(NEXT) | instid1(VALU_DEP_4)
	v_cndmask_b32_e64 v22, v27, v29, s3
	v_cndmask_b32_e64 v24, v26, v27, s3
	;; [unrolled: 1-line block ×3, first 2 shown]
	v_sub_nc_u32_e32 v27, 32, v2
	v_cndmask_b32_e64 v25, v25, v19, s3
	v_cndmask_b32_e64 v18, v19, v18, s3
	;; [unrolled: 1-line block ×4, first 2 shown]
	s_delay_alu instid0(VALU_DEP_4) | instskip(NEXT) | instid1(VALU_DEP_4)
	v_cndmask_b32_e64 v26, v26, v25, s4
	v_cndmask_b32_e64 v18, v25, v18, s4
	s_delay_alu instid0(VALU_DEP_3) | instskip(NEXT) | instid1(VALU_DEP_3)
	v_alignbit_b32 v28, v24, v22, v27
	v_alignbit_b32 v23, v22, v26, v27
	s_delay_alu instid0(VALU_DEP_3) | instskip(SKIP_1) | instid1(VALU_DEP_2)
	v_alignbit_b32 v25, v26, v18, v27
	s_wait_alu 0xfffd
	v_dual_cndmask_b32 v2, v28, v24 :: v_dual_cndmask_b32 v19, v23, v22
	s_delay_alu instid0(VALU_DEP_2) | instskip(NEXT) | instid1(VALU_DEP_2)
	v_cndmask_b32_e32 v25, v25, v26, vcc_lo
	v_bfe_u32 v22, v2, 29, 1
	s_delay_alu instid0(VALU_DEP_3) | instskip(NEXT) | instid1(VALU_DEP_3)
	v_alignbit_b32 v23, v2, v19, 30
	v_alignbit_b32 v19, v19, v25, 30
	;; [unrolled: 1-line block ×3, first 2 shown]
	s_delay_alu instid0(VALU_DEP_4) | instskip(NEXT) | instid1(VALU_DEP_1)
	v_sub_nc_u32_e32 v24, 0, v22
	v_xor_b32_e32 v23, v23, v24
	s_delay_alu instid0(VALU_DEP_4) | instskip(NEXT) | instid1(VALU_DEP_4)
	v_xor_b32_e32 v19, v19, v24
	v_xor_b32_e32 v18, v18, v24
	s_delay_alu instid0(VALU_DEP_3) | instskip(NEXT) | instid1(VALU_DEP_1)
	v_clz_i32_u32_e32 v26, v23
	v_min_u32_e32 v26, 32, v26
	s_delay_alu instid0(VALU_DEP_1) | instskip(SKIP_3) | instid1(VALU_DEP_4)
	v_sub_nc_u32_e32 v25, 31, v26
	v_lshlrev_b32_e32 v27, 23, v26
	v_lshrrev_b32_e32 v24, 29, v2
	v_lshrrev_b32_e32 v2, 30, v2
	v_alignbit_b32 v23, v23, v19, v25
	v_alignbit_b32 v18, v19, v18, v25
	s_delay_alu instid0(VALU_DEP_4) | instskip(NEXT) | instid1(VALU_DEP_2)
	v_lshlrev_b32_e32 v19, 31, v24
	v_alignbit_b32 v24, v23, v18, 9
	s_delay_alu instid0(VALU_DEP_2) | instskip(SKIP_2) | instid1(VALU_DEP_4)
	v_or_b32_e32 v25, 0.5, v19
	v_lshrrev_b32_e32 v23, 9, v23
	v_or_b32_e32 v19, 0x33000000, v19
	v_clz_i32_u32_e32 v28, v24
	s_delay_alu instid0(VALU_DEP_4) | instskip(NEXT) | instid1(VALU_DEP_2)
	v_sub_nc_u32_e32 v25, v25, v27
	v_min_u32_e32 v27, 32, v28
	s_delay_alu instid0(VALU_DEP_2) | instskip(NEXT) | instid1(VALU_DEP_2)
	v_or_b32_e32 v23, v23, v25
	v_not_b32_e32 v25, v27
	v_add_lshl_u32 v26, v27, v26, 23
	s_delay_alu instid0(VALU_DEP_3) | instskip(NEXT) | instid1(VALU_DEP_3)
	v_mul_f32_e32 v28, 0x3fc90fda, v23
	v_alignbit_b32 v18, v24, v18, v25
	s_delay_alu instid0(VALU_DEP_3) | instskip(NEXT) | instid1(VALU_DEP_2)
	v_sub_nc_u32_e32 v19, v19, v26
	v_lshrrev_b32_e32 v18, 9, v18
	s_delay_alu instid0(VALU_DEP_1) | instskip(SKIP_2) | instid1(VALU_DEP_1)
	v_or_b32_e32 v18, v19, v18
	v_add_nc_u32_e32 v19, v22, v2
	v_fma_f32 v24, 0x3fc90fda, v23, -v28
	v_fmac_f32_e32 v24, 0x33a22168, v23
	s_delay_alu instid0(VALU_DEP_1) | instskip(NEXT) | instid1(VALU_DEP_1)
	v_fmac_f32_e32 v24, 0x3fc90fda, v18
	v_add_f32_e32 v18, v28, v24
.LBB6_20:                               ;   in Loop: Header=BB6_2 Depth=1
	s_or_saveexec_b32 s3, s29
	v_mul_f32_e64 v2, 0x3f22f983, |v15|
	s_delay_alu instid0(VALU_DEP_1)
	v_rndne_f32_e32 v23, v2
	s_wait_alu 0xfffe
	s_xor_b32 exec_lo, exec_lo, s3
; %bb.21:                               ;   in Loop: Header=BB6_2 Depth=1
	s_delay_alu instid0(VALU_DEP_1) | instskip(SKIP_1) | instid1(VALU_DEP_2)
	v_fma_f32 v18, 0xbfc90fda, v23, |v15|
	v_cvt_i32_f32_e32 v19, v23
	v_fmac_f32_e32 v18, 0xb3a22168, v23
	s_delay_alu instid0(VALU_DEP_1)
	v_fmac_f32_e32 v18, 0xa7c234c4, v23
; %bb.22:                               ;   in Loop: Header=BB6_2 Depth=1
	s_or_b32 exec_lo, exec_lo, s3
                                        ; implicit-def: $vgpr22
                                        ; implicit-def: $vgpr2
	s_and_saveexec_b32 s3, s28
	s_wait_alu 0xfffe
	s_xor_b32 s28, exec_lo, s3
	s_cbranch_execz .LBB6_24
; %bb.23:                               ;   in Loop: Header=BB6_2 Depth=1
	v_mad_co_u64_u32 v[22:23], null, 0xfe5163ab, v20, 0
	v_cmp_lt_u32_e32 vcc_lo, 63, v21
	s_wait_alu 0xfffd
	v_cndmask_b32_e64 v28, 0, 0xffffffc0, vcc_lo
	s_delay_alu instid0(VALU_DEP_1) | instskip(NEXT) | instid1(VALU_DEP_1)
	v_dual_mov_b32 v2, v23 :: v_dual_add_nc_u32 v21, v28, v21
	v_mad_co_u64_u32 v[23:24], null, 0x3c439041, v20, v[2:3]
	s_delay_alu instid0(VALU_DEP_2) | instskip(NEXT) | instid1(VALU_DEP_2)
	v_cmp_lt_u32_e64 s3, 31, v21
	v_mov_b32_e32 v2, v24
	s_wait_alu 0xf1ff
	s_delay_alu instid0(VALU_DEP_2) | instskip(NEXT) | instid1(VALU_DEP_2)
	v_cndmask_b32_e64 v29, 0, 0xffffffe0, s3
	v_mad_co_u64_u32 v[24:25], null, 0xdb629599, v20, v[2:3]
	s_delay_alu instid0(VALU_DEP_1) | instskip(NEXT) | instid1(VALU_DEP_2)
	v_mov_b32_e32 v2, v25
	v_cndmask_b32_e32 v22, v24, v22, vcc_lo
	s_delay_alu instid0(VALU_DEP_2) | instskip(NEXT) | instid1(VALU_DEP_1)
	v_mad_co_u64_u32 v[25:26], null, 0xf534ddc0, v20, v[2:3]
	v_dual_mov_b32 v2, v26 :: v_dual_cndmask_b32 v23, v25, v23
	s_delay_alu instid0(VALU_DEP_1) | instskip(NEXT) | instid1(VALU_DEP_1)
	v_mad_co_u64_u32 v[26:27], null, 0xfc2757d1, v20, v[2:3]
	v_mov_b32_e32 v2, v27
	s_delay_alu instid0(VALU_DEP_1) | instskip(NEXT) | instid1(VALU_DEP_1)
	v_mad_co_u64_u32 v[27:28], null, 0x4e441529, v20, v[2:3]
	v_mov_b32_e32 v2, v28
	v_add_nc_u32_e32 v28, v29, v21
	s_delay_alu instid0(VALU_DEP_3) | instskip(NEXT) | instid1(VALU_DEP_3)
	v_cndmask_b32_e32 v29, v27, v25, vcc_lo
	v_mad_co_u64_u32 v[20:21], null, 0xa2f9836e, v20, v[2:3]
	s_delay_alu instid0(VALU_DEP_3) | instskip(SKIP_1) | instid1(VALU_DEP_1)
	v_cmp_lt_u32_e64 s4, 31, v28
	s_wait_alu 0xf1ff
	v_cndmask_b32_e64 v2, 0, 0xffffffe0, s4
	s_delay_alu instid0(VALU_DEP_3) | instskip(SKIP_1) | instid1(VALU_DEP_3)
	v_dual_cndmask_b32 v20, v20, v26 :: v_dual_cndmask_b32 v21, v21, v27
	v_cndmask_b32_e32 v26, v26, v24, vcc_lo
	v_add_nc_u32_e32 v2, v2, v28
	s_delay_alu instid0(VALU_DEP_3) | instskip(NEXT) | instid1(VALU_DEP_4)
	v_cndmask_b32_e64 v25, v20, v29, s3
	v_cndmask_b32_e64 v20, v21, v20, s3
	s_delay_alu instid0(VALU_DEP_4)
	v_cndmask_b32_e64 v21, v29, v26, s3
	v_cndmask_b32_e64 v26, v26, v23, s3
	v_sub_nc_u32_e32 v27, 32, v2
	v_cmp_eq_u32_e32 vcc_lo, 0, v2
	v_cndmask_b32_e64 v20, v20, v25, s4
	v_cndmask_b32_e64 v25, v25, v21, s4
	;; [unrolled: 1-line block ×3, first 2 shown]
	s_delay_alu instid0(VALU_DEP_2) | instskip(NEXT) | instid1(VALU_DEP_2)
	v_alignbit_b32 v28, v20, v25, v27
	v_alignbit_b32 v24, v25, v21, v27
	s_wait_alu 0xfffd
	s_delay_alu instid0(VALU_DEP_2) | instskip(SKIP_1) | instid1(VALU_DEP_3)
	v_cndmask_b32_e32 v2, v28, v20, vcc_lo
	v_cndmask_b32_e64 v20, v23, v22, s3
	v_cndmask_b32_e32 v22, v24, v25, vcc_lo
	s_delay_alu instid0(VALU_DEP_3) | instskip(NEXT) | instid1(VALU_DEP_3)
	v_bfe_u32 v23, v2, 29, 1
	v_cndmask_b32_e64 v20, v26, v20, s4
	s_delay_alu instid0(VALU_DEP_3) | instskip(NEXT) | instid1(VALU_DEP_3)
	v_alignbit_b32 v24, v2, v22, 30
	v_sub_nc_u32_e32 v25, 0, v23
	s_delay_alu instid0(VALU_DEP_3) | instskip(NEXT) | instid1(VALU_DEP_2)
	v_alignbit_b32 v26, v21, v20, v27
	v_xor_b32_e32 v24, v24, v25
	s_delay_alu instid0(VALU_DEP_2) | instskip(NEXT) | instid1(VALU_DEP_2)
	v_cndmask_b32_e32 v21, v26, v21, vcc_lo
	v_clz_i32_u32_e32 v26, v24
	s_delay_alu instid0(VALU_DEP_2) | instskip(SKIP_1) | instid1(VALU_DEP_3)
	v_alignbit_b32 v22, v22, v21, 30
	v_alignbit_b32 v20, v21, v20, 30
	v_min_u32_e32 v26, 32, v26
	s_delay_alu instid0(VALU_DEP_3) | instskip(NEXT) | instid1(VALU_DEP_3)
	v_xor_b32_e32 v21, v22, v25
	v_xor_b32_e32 v20, v20, v25
	s_delay_alu instid0(VALU_DEP_3) | instskip(SKIP_2) | instid1(VALU_DEP_3)
	v_sub_nc_u32_e32 v22, 31, v26
	v_lshlrev_b32_e32 v27, 23, v26
	v_lshrrev_b32_e32 v25, 29, v2
	v_alignbit_b32 v24, v24, v21, v22
	v_alignbit_b32 v20, v21, v20, v22
	s_delay_alu instid0(VALU_DEP_3) | instskip(NEXT) | instid1(VALU_DEP_2)
	v_lshlrev_b32_e32 v21, 31, v25
	v_alignbit_b32 v22, v24, v20, 9
	s_delay_alu instid0(VALU_DEP_2) | instskip(SKIP_2) | instid1(VALU_DEP_4)
	v_or_b32_e32 v25, 0.5, v21
	v_lshrrev_b32_e32 v24, 9, v24
	v_or_b32_e32 v21, 0x33000000, v21
	v_clz_i32_u32_e32 v28, v22
	s_delay_alu instid0(VALU_DEP_4) | instskip(NEXT) | instid1(VALU_DEP_2)
	v_sub_nc_u32_e32 v25, v25, v27
	v_min_u32_e32 v27, 32, v28
	s_delay_alu instid0(VALU_DEP_2) | instskip(NEXT) | instid1(VALU_DEP_2)
	v_or_b32_e32 v24, v24, v25
	v_not_b32_e32 v25, v27
	s_delay_alu instid0(VALU_DEP_2) | instskip(SKIP_1) | instid1(VALU_DEP_3)
	v_mul_f32_e32 v28, 0x3fc90fda, v24
	v_add_lshl_u32 v26, v27, v26, 23
	v_alignbit_b32 v20, v22, v20, v25
	s_delay_alu instid0(VALU_DEP_3) | instskip(NEXT) | instid1(VALU_DEP_3)
	v_fma_f32 v22, 0x3fc90fda, v24, -v28
	v_sub_nc_u32_e32 v21, v21, v26
	s_delay_alu instid0(VALU_DEP_3) | instskip(NEXT) | instid1(VALU_DEP_3)
	v_lshrrev_b32_e32 v20, 9, v20
	v_fmac_f32_e32 v22, 0x33a22168, v24
	s_delay_alu instid0(VALU_DEP_2) | instskip(NEXT) | instid1(VALU_DEP_1)
	v_or_b32_e32 v20, v21, v20
	v_fmac_f32_e32 v22, 0x3fc90fda, v20
	v_lshrrev_b32_e32 v20, 30, v2
	s_delay_alu instid0(VALU_DEP_2) | instskip(NEXT) | instid1(VALU_DEP_2)
	v_add_f32_e32 v2, v28, v22
	v_add_nc_u32_e32 v22, v23, v20
                                        ; implicit-def: $vgpr23
	s_and_not1_saveexec_b32 s3, s28
	s_cbranch_execz .LBB6_1
	s_branch .LBB6_25
.LBB6_24:                               ;   in Loop: Header=BB6_2 Depth=1
	s_and_not1_saveexec_b32 s3, s28
	s_cbranch_execz .LBB6_1
.LBB6_25:                               ;   in Loop: Header=BB6_2 Depth=1
	v_fma_f32 v2, 0xbfc90fda, v23, |v15|
	v_cvt_i32_f32_e32 v22, v23
	s_delay_alu instid0(VALU_DEP_2) | instskip(NEXT) | instid1(VALU_DEP_1)
	v_fmac_f32_e32 v2, 0xb3a22168, v23
	v_fmac_f32_e32 v2, 0xa7c234c4, v23
	s_branch .LBB6_1
.LBB6_26:
	s_clause 0x1
	s_load_b64 s[12:13], s[0:1], 0x0
	s_load_b128 s[4:7], s[0:1], 0x48
	scratch_load_b128 v[0:3], off, off offset:256
	v_mov_b32_e32 v63, 0
	s_add_nc_u64 s[8:9], s[8:9], 8
	s_wait_kmcnt 0x0
	s_max_i32 s1, s13, 1
	s_mov_b32 s13, 0
	s_max_i32 s3, s12, 1
	s_wait_alu 0xfffe
	s_mov_b32 s12, s13
	s_wait_loadcnt 0x0
	scratch_store_b128 off, v[0:3], off offset:3636 ; 16-byte Folded Spill
	scratch_load_b128 v[0:3], off, off offset:272
	s_wait_loadcnt 0x0
	scratch_store_b128 off, v[0:3], off offset:3652 ; 16-byte Folded Spill
	scratch_load_b128 v[0:3], off, off offset:288
	;; [unrolled: 3-line block ×74, first 2 shown]
	s_wait_loadcnt 0x0
	scratch_store_b128 off, v[0:3], off offset:4820 ; 16-byte Folded Spill
.LBB6_27:                               ; =>This Loop Header: Depth=1
                                        ;     Child Loop BB6_28 Depth 2
	s_wait_alu 0xfffe
	s_lshl_b64 s[14:15], s[12:13], 4
	s_mov_b32 s25, s1
	s_wait_alu 0xfffe
	s_add_nc_u64 s[14:15], s[10:11], s[14:15]
	global_load_b128 v[108:111], v63, s[14:15]
	s_clause 0x1
	scratch_load_b128 v[0:3], off, off offset:1456
	scratch_load_b128 v[4:7], off, off offset:1472
	s_mov_b64 s[14:15], s[8:9]
	s_wait_loadcnt 0x2
	v_ashrrev_i32_e32 v62, 31, v111
	s_wait_loadcnt 0x1
	v_fma_f32 v0, v108, v0, v3
	s_delay_alu instid0(VALU_DEP_1) | instskip(NEXT) | instid1(VALU_DEP_1)
	v_dual_mov_b32 v61, v111 :: v_dual_fmac_f32 v0, v109, v1
	v_lshlrev_b64_e32 v[61:62], 4, v[61:62]
	s_delay_alu instid0(VALU_DEP_2) | instskip(NEXT) | instid1(VALU_DEP_2)
	v_fmac_f32_e32 v0, v110, v2
	v_add_co_u32 v61, vcc_lo, s6, v61
	s_wait_alu 0xfffd
	s_delay_alu instid0(VALU_DEP_3) | instskip(SKIP_3) | instid1(VALU_DEP_1)
	v_add_co_ci_u32_e64 v62, null, s7, v62, vcc_lo
	scratch_store_b32 off, v0, off offset:3328 ; 4-byte Folded Spill
	s_wait_loadcnt 0x0
	v_fma_f32 v0, v108, v4, v7
	v_fmac_f32_e32 v0, v109, v5
	s_delay_alu instid0(VALU_DEP_1)
	v_fmac_f32_e32 v0, v110, v6
	scratch_store_b32 off, v0, off offset:3332 ; 4-byte Folded Spill
	s_clause 0x1
	scratch_load_b128 v[0:3], off, off offset:1488
	scratch_load_b128 v[4:7], off, off offset:1504
	s_wait_loadcnt 0x1
	v_fma_f32 v0, v108, v0, v3
	s_delay_alu instid0(VALU_DEP_1) | instskip(NEXT) | instid1(VALU_DEP_1)
	v_fmac_f32_e32 v0, v109, v1
	v_fmac_f32_e32 v0, v110, v2
	scratch_store_b32 off, v0, off offset:3336 ; 4-byte Folded Spill
	s_wait_loadcnt 0x0
	v_fma_f32 v0, v108, v4, v7
	s_delay_alu instid0(VALU_DEP_1) | instskip(NEXT) | instid1(VALU_DEP_1)
	v_fmac_f32_e32 v0, v109, v5
	v_fmac_f32_e32 v0, v110, v6
	scratch_store_b32 off, v0, off offset:3340 ; 4-byte Folded Spill
	s_clause 0x1
	scratch_load_b128 v[0:3], off, off offset:1520
	scratch_load_b128 v[4:7], off, off offset:1536
	s_wait_loadcnt 0x1
	v_fma_f32 v0, v108, v0, v3
	s_delay_alu instid0(VALU_DEP_1) | instskip(NEXT) | instid1(VALU_DEP_1)
	v_fmac_f32_e32 v0, v109, v1
	v_fmac_f32_e32 v0, v110, v2
	scratch_store_b32 off, v0, off offset:3344 ; 4-byte Folded Spill
	s_wait_loadcnt 0x0
	v_fma_f32 v0, v108, v4, v7
	s_delay_alu instid0(VALU_DEP_1) | instskip(NEXT) | instid1(VALU_DEP_1)
	v_fmac_f32_e32 v0, v109, v5
	;; [unrolled: 15-line block ×37, first 2 shown]
	v_fmac_f32_e32 v0, v110, v6
	scratch_store_b32 off, v0, off offset:3628 ; 4-byte Folded Spill
	s_clause 0x1
	scratch_load_b128 v[0:3], off, off offset:2672
	scratch_load_b128 v[4:7], off, off offset:2688
	s_wait_loadcnt 0x1
	v_fma_f32 v0, v108, v0, v3
	s_wait_loadcnt 0x0
	v_fma_f32 v66, v108, v4, v7
	s_delay_alu instid0(VALU_DEP_2) | instskip(NEXT) | instid1(VALU_DEP_2)
	v_fmac_f32_e32 v0, v109, v1
	v_fmac_f32_e32 v66, v109, v5
	s_delay_alu instid0(VALU_DEP_2) | instskip(NEXT) | instid1(VALU_DEP_2)
	v_fmac_f32_e32 v0, v110, v2
	v_fmac_f32_e32 v66, v110, v6
	scratch_store_b32 off, v0, off offset:3632 ; 4-byte Folded Spill
	s_clause 0x1
	scratch_load_b128 v[0:3], off, off offset:2704
	scratch_load_b128 v[4:7], off, off offset:2720
	s_wait_loadcnt 0x1
	v_fma_f32 v67, v108, v0, v3
	s_wait_loadcnt 0x0
	v_fma_f32 v68, v108, v4, v7
	s_delay_alu instid0(VALU_DEP_2) | instskip(NEXT) | instid1(VALU_DEP_1)
	v_fmac_f32_e32 v67, v109, v1
	v_dual_fmac_f32 v68, v109, v5 :: v_dual_fmac_f32 v67, v110, v2
	s_delay_alu instid0(VALU_DEP_1)
	v_fmac_f32_e32 v68, v110, v6
	s_clause 0x1
	scratch_load_b128 v[0:3], off, off offset:2736
	scratch_load_b128 v[4:7], off, off offset:2752
	s_wait_loadcnt 0x1
	v_fma_f32 v69, v108, v0, v3
	s_wait_loadcnt 0x0
	v_fma_f32 v70, v108, v4, v7
	s_delay_alu instid0(VALU_DEP_2) | instskip(NEXT) | instid1(VALU_DEP_1)
	v_fmac_f32_e32 v69, v109, v1
	v_dual_fmac_f32 v70, v109, v5 :: v_dual_fmac_f32 v69, v110, v2
	s_delay_alu instid0(VALU_DEP_1)
	v_fmac_f32_e32 v70, v110, v6
	s_clause 0x1
	scratch_load_b128 v[0:3], off, off offset:2768
	scratch_load_b128 v[4:7], off, off offset:2784
	s_wait_loadcnt 0x1
	v_fma_f32 v71, v108, v0, v3
	s_wait_loadcnt 0x0
	v_fma_f32 v72, v108, v4, v7
	s_delay_alu instid0(VALU_DEP_2) | instskip(NEXT) | instid1(VALU_DEP_1)
	v_fmac_f32_e32 v71, v109, v1
	v_dual_fmac_f32 v72, v109, v5 :: v_dual_fmac_f32 v71, v110, v2
	s_delay_alu instid0(VALU_DEP_1)
	v_fmac_f32_e32 v72, v110, v6
	s_clause 0x1
	scratch_load_b128 v[0:3], off, off offset:2800
	scratch_load_b128 v[4:7], off, off offset:2816
	s_wait_loadcnt 0x1
	v_fma_f32 v73, v108, v0, v3
	s_wait_loadcnt 0x0
	v_fma_f32 v74, v108, v4, v7
	s_delay_alu instid0(VALU_DEP_2) | instskip(NEXT) | instid1(VALU_DEP_1)
	v_fmac_f32_e32 v73, v109, v1
	v_dual_fmac_f32 v74, v109, v5 :: v_dual_fmac_f32 v73, v110, v2
	s_delay_alu instid0(VALU_DEP_1)
	v_fmac_f32_e32 v74, v110, v6
	s_clause 0x1
	scratch_load_b128 v[0:3], off, off offset:2832
	scratch_load_b128 v[4:7], off, off offset:2848
	s_wait_loadcnt 0x1
	v_fma_f32 v75, v108, v0, v3
	s_wait_loadcnt 0x0
	v_fma_f32 v76, v108, v4, v7
	s_delay_alu instid0(VALU_DEP_2) | instskip(NEXT) | instid1(VALU_DEP_1)
	v_fmac_f32_e32 v75, v109, v1
	v_dual_fmac_f32 v76, v109, v5 :: v_dual_fmac_f32 v75, v110, v2
	s_delay_alu instid0(VALU_DEP_1)
	v_fmac_f32_e32 v76, v110, v6
	s_clause 0x1
	scratch_load_b128 v[0:3], off, off offset:2864
	scratch_load_b128 v[4:7], off, off offset:2880
	s_wait_loadcnt 0x1
	v_fma_f32 v77, v108, v0, v3
	s_wait_loadcnt 0x0
	v_fma_f32 v78, v108, v4, v7
	s_delay_alu instid0(VALU_DEP_2) | instskip(NEXT) | instid1(VALU_DEP_1)
	v_fmac_f32_e32 v77, v109, v1
	v_dual_fmac_f32 v78, v109, v5 :: v_dual_fmac_f32 v77, v110, v2
	s_delay_alu instid0(VALU_DEP_1)
	v_fmac_f32_e32 v78, v110, v6
	s_clause 0x1
	scratch_load_b128 v[0:3], off, off offset:2896
	scratch_load_b128 v[4:7], off, off offset:2912
	s_wait_loadcnt 0x1
	v_fma_f32 v79, v108, v0, v3
	s_wait_loadcnt 0x0
	v_fma_f32 v80, v108, v4, v7
	s_delay_alu instid0(VALU_DEP_2) | instskip(NEXT) | instid1(VALU_DEP_1)
	v_fmac_f32_e32 v79, v109, v1
	v_dual_fmac_f32 v80, v109, v5 :: v_dual_fmac_f32 v79, v110, v2
	s_delay_alu instid0(VALU_DEP_1)
	v_fmac_f32_e32 v80, v110, v6
	s_clause 0x1
	scratch_load_b128 v[0:3], off, off offset:2928
	scratch_load_b128 v[4:7], off, off offset:2944
	s_wait_loadcnt 0x1
	v_fma_f32 v81, v108, v0, v3
	s_wait_loadcnt 0x0
	v_fma_f32 v82, v108, v4, v7
	s_delay_alu instid0(VALU_DEP_2) | instskip(NEXT) | instid1(VALU_DEP_1)
	v_fmac_f32_e32 v81, v109, v1
	v_dual_fmac_f32 v82, v109, v5 :: v_dual_fmac_f32 v81, v110, v2
	s_delay_alu instid0(VALU_DEP_1)
	v_fmac_f32_e32 v82, v110, v6
	s_clause 0x1
	scratch_load_b128 v[0:3], off, off offset:2960
	scratch_load_b128 v[4:7], off, off offset:2976
	s_wait_loadcnt 0x1
	v_fma_f32 v83, v108, v0, v3
	s_wait_loadcnt 0x0
	v_fma_f32 v84, v108, v4, v7
	s_delay_alu instid0(VALU_DEP_2) | instskip(NEXT) | instid1(VALU_DEP_1)
	v_fmac_f32_e32 v83, v109, v1
	v_dual_fmac_f32 v84, v109, v5 :: v_dual_fmac_f32 v83, v110, v2
	s_delay_alu instid0(VALU_DEP_1)
	v_fmac_f32_e32 v84, v110, v6
	s_clause 0x1
	scratch_load_b128 v[0:3], off, off offset:2992
	scratch_load_b128 v[4:7], off, off offset:3008
	s_wait_loadcnt 0x1
	v_fma_f32 v85, v108, v0, v3
	s_wait_loadcnt 0x0
	v_fma_f32 v86, v108, v4, v7
	s_delay_alu instid0(VALU_DEP_2) | instskip(NEXT) | instid1(VALU_DEP_1)
	v_fmac_f32_e32 v85, v109, v1
	v_dual_fmac_f32 v86, v109, v5 :: v_dual_fmac_f32 v85, v110, v2
	s_delay_alu instid0(VALU_DEP_1)
	v_fmac_f32_e32 v86, v110, v6
	s_clause 0x1
	scratch_load_b128 v[0:3], off, off offset:3024
	scratch_load_b128 v[4:7], off, off offset:3040
	s_wait_loadcnt 0x1
	v_fma_f32 v87, v108, v0, v3
	s_wait_loadcnt 0x0
	v_fma_f32 v88, v108, v4, v7
	s_delay_alu instid0(VALU_DEP_2) | instskip(NEXT) | instid1(VALU_DEP_1)
	v_fmac_f32_e32 v87, v109, v1
	v_dual_fmac_f32 v88, v109, v5 :: v_dual_fmac_f32 v87, v110, v2
	s_delay_alu instid0(VALU_DEP_1)
	v_fmac_f32_e32 v88, v110, v6
	s_clause 0x1
	scratch_load_b128 v[0:3], off, off offset:3056
	scratch_load_b128 v[4:7], off, off offset:3072
	s_wait_loadcnt 0x1
	v_fma_f32 v89, v108, v0, v3
	s_wait_loadcnt 0x0
	v_fma_f32 v90, v108, v4, v7
	s_delay_alu instid0(VALU_DEP_2) | instskip(NEXT) | instid1(VALU_DEP_1)
	v_fmac_f32_e32 v89, v109, v1
	v_dual_fmac_f32 v90, v109, v5 :: v_dual_fmac_f32 v89, v110, v2
	s_delay_alu instid0(VALU_DEP_1)
	v_fmac_f32_e32 v90, v110, v6
	s_clause 0x1
	scratch_load_b128 v[0:3], off, off offset:3088
	scratch_load_b128 v[4:7], off, off offset:3104
	s_wait_loadcnt 0x1
	v_fma_f32 v91, v108, v0, v3
	s_wait_loadcnt 0x0
	v_fma_f32 v92, v108, v4, v7
	s_delay_alu instid0(VALU_DEP_2) | instskip(NEXT) | instid1(VALU_DEP_1)
	v_fmac_f32_e32 v91, v109, v1
	v_dual_fmac_f32 v92, v109, v5 :: v_dual_fmac_f32 v91, v110, v2
	s_delay_alu instid0(VALU_DEP_1)
	v_fmac_f32_e32 v92, v110, v6
	s_clause 0x1
	scratch_load_b128 v[0:3], off, off offset:3120
	scratch_load_b128 v[4:7], off, off offset:3136
	s_wait_loadcnt 0x1
	v_fma_f32 v93, v108, v0, v3
	s_wait_loadcnt 0x0
	v_fma_f32 v94, v108, v4, v7
	s_delay_alu instid0(VALU_DEP_2) | instskip(NEXT) | instid1(VALU_DEP_1)
	v_fmac_f32_e32 v93, v109, v1
	v_dual_fmac_f32 v94, v109, v5 :: v_dual_fmac_f32 v93, v110, v2
	s_delay_alu instid0(VALU_DEP_1)
	v_fmac_f32_e32 v94, v110, v6
	s_clause 0x1
	scratch_load_b128 v[0:3], off, off offset:3152
	scratch_load_b128 v[4:7], off, off offset:3168
	s_wait_loadcnt 0x1
	v_fma_f32 v95, v108, v0, v3
	s_wait_loadcnt 0x0
	v_fma_f32 v96, v108, v4, v7
	s_delay_alu instid0(VALU_DEP_2) | instskip(NEXT) | instid1(VALU_DEP_1)
	v_fmac_f32_e32 v95, v109, v1
	v_dual_fmac_f32 v96, v109, v5 :: v_dual_fmac_f32 v95, v110, v2
	s_delay_alu instid0(VALU_DEP_1)
	v_fmac_f32_e32 v96, v110, v6
	s_clause 0x1
	scratch_load_b128 v[0:3], off, off offset:3184
	scratch_load_b128 v[4:7], off, off offset:3200
	s_wait_loadcnt 0x1
	v_fma_f32 v97, v108, v0, v3
	s_wait_loadcnt 0x0
	v_fma_f32 v98, v108, v4, v7
	s_delay_alu instid0(VALU_DEP_2) | instskip(NEXT) | instid1(VALU_DEP_1)
	v_fmac_f32_e32 v97, v109, v1
	v_dual_fmac_f32 v98, v109, v5 :: v_dual_fmac_f32 v97, v110, v2
	s_delay_alu instid0(VALU_DEP_1)
	v_fmac_f32_e32 v98, v110, v6
	s_clause 0x1
	scratch_load_b128 v[0:3], off, off offset:3216
	scratch_load_b128 v[4:7], off, off offset:3232
	s_wait_loadcnt 0x1
	v_fma_f32 v99, v108, v0, v3
	s_wait_loadcnt 0x0
	v_fma_f32 v100, v108, v4, v7
	s_delay_alu instid0(VALU_DEP_2) | instskip(NEXT) | instid1(VALU_DEP_1)
	v_fmac_f32_e32 v99, v109, v1
	v_dual_fmac_f32 v100, v109, v5 :: v_dual_fmac_f32 v99, v110, v2
	s_delay_alu instid0(VALU_DEP_1)
	v_fmac_f32_e32 v100, v110, v6
	s_clause 0x1
	scratch_load_b128 v[0:3], off, off offset:3248
	scratch_load_b128 v[4:7], off, off offset:3264
	s_wait_loadcnt 0x1
	v_fma_f32 v101, v108, v0, v3
	s_wait_loadcnt 0x0
	v_fma_f32 v102, v108, v4, v7
	s_delay_alu instid0(VALU_DEP_2) | instskip(NEXT) | instid1(VALU_DEP_1)
	v_fmac_f32_e32 v101, v109, v1
	v_dual_fmac_f32 v102, v109, v5 :: v_dual_fmac_f32 v101, v110, v2
	s_delay_alu instid0(VALU_DEP_1)
	v_fmac_f32_e32 v102, v110, v6
	s_clause 0x1
	scratch_load_b128 v[0:3], off, off offset:3280
	scratch_load_b128 v[4:7], off, off offset:3296
	global_load_b128 v[132:135], v[61:62], off
	scratch_load_b128 v[111:114], off, off offset:4644 ; 16-byte Folded Reload
	s_wait_loadcnt 0x3
	v_fma_f32 v103, v108, v0, v3
	s_wait_loadcnt 0x2
	v_fma_f32 v104, v108, v4, v7
	s_wait_loadcnt 0x1
	v_readfirstlane_b32 s16, v134
	v_readfirstlane_b32 s0, v132
	v_fmac_f32_e32 v103, v109, v1
	v_fmac_f32_e32 v104, v109, v5
	s_cmp_gt_f32 s16, 0
	s_delay_alu instid0(VALU_DEP_2)
	v_fmac_f32_e32 v103, v110, v2
	scratch_load_b128 v[0:3], off, off offset:3312
	v_fmac_f32_e32 v104, v110, v6
	s_cselect_b32 s17, -1, 0
	s_cmp_eq_u32 s0, 0x46
	s_cselect_b32 s18, -1, 0
	s_cmp_eq_u32 s0, 0x45
	s_cselect_b32 s19, -1, 0
	s_cmp_lt_f32 s16, 0
	s_cselect_b32 s20, -1, 0
	s_wait_alu 0xfffe
	s_and_b32 s0, s20, exec_lo
	s_cselect_b32 s21, 0x40b00000, 1.0
	s_cselect_b32 s22, 1.0, 0xff7fffff
	s_xor_b32 s23, s16, 0x80000000
	s_wait_loadcnt 0x0
	v_fma_f32 v105, v108, v0, v3
	s_delay_alu instid0(VALU_DEP_1) | instskip(NEXT) | instid1(VALU_DEP_1)
	v_fmac_f32_e32 v105, v109, v1
	v_fmac_f32_e32 v105, v110, v2
	scratch_load_b128 v[0:3], off, off offset:3636 ; 16-byte Folded Reload
	s_wait_loadcnt 0x0
	v_fma_f32 v106, v108, v0, v3
	scratch_load_b128 v[3:6], off, off offset:3652 ; 16-byte Folded Reload
	v_fmac_f32_e32 v106, v109, v1
	s_delay_alu instid0(VALU_DEP_1)
	v_fmac_f32_e32 v106, v110, v2
	s_wait_loadcnt 0x0
	v_fma_f32 v107, v108, v3, v6
	s_clause 0x1
	scratch_load_b128 v[6:9], off, off offset:3668
	scratch_load_b128 v[0:3], off, off offset:3716
	v_fmac_f32_e32 v107, v109, v4
	s_delay_alu instid0(VALU_DEP_1)
	v_fmac_f32_e32 v107, v110, v5
	s_wait_loadcnt 0x1
	v_fma_f32 v180, v108, v6, v9
	scratch_load_b128 v[9:12], off, off offset:3684 ; 16-byte Folded Reload
	s_wait_loadcnt 0x1
	v_fma_f32 v183, v108, v0, v3
	scratch_load_b128 v[3:6], off, off offset:3732 ; 16-byte Folded Reload
	v_fmac_f32_e32 v180, v109, v7
	s_delay_alu instid0(VALU_DEP_1) | instskip(NEXT) | instid1(VALU_DEP_1)
	v_dual_fmac_f32 v183, v109, v1 :: v_dual_fmac_f32 v180, v110, v8
	v_fmac_f32_e32 v183, v110, v2
	s_wait_loadcnt 0x1
	v_fma_f32 v181, v108, v9, v12
	scratch_load_b128 v[12:15], off, off offset:3700 ; 16-byte Folded Reload
	s_wait_loadcnt 0x1
	v_fma_f32 v184, v108, v3, v6
	s_clause 0x1
	scratch_load_b128 v[6:9], off, off offset:3748
	scratch_load_b128 v[0:3], off, off offset:3796
	v_fmac_f32_e32 v181, v109, v10
	s_delay_alu instid0(VALU_DEP_1) | instskip(NEXT) | instid1(VALU_DEP_1)
	v_dual_fmac_f32 v184, v109, v4 :: v_dual_fmac_f32 v181, v110, v11
	v_fmac_f32_e32 v184, v110, v5
	s_wait_loadcnt 0x2
	v_fma_f32 v182, v108, v12, v15
	s_wait_loadcnt 0x1
	v_fma_f32 v185, v108, v6, v9
	scratch_load_b128 v[9:12], off, off offset:3764 ; 16-byte Folded Reload
	s_wait_loadcnt 0x1
	v_fma_f32 v188, v108, v0, v3
	v_fmac_f32_e32 v182, v109, v13
	scratch_load_b128 v[3:6], off, off offset:3812 ; 16-byte Folded Reload
	v_fmac_f32_e32 v185, v109, v7
	v_fmac_f32_e32 v188, v109, v1
	;; [unrolled: 1-line block ×3, first 2 shown]
	s_delay_alu instid0(VALU_DEP_3) | instskip(NEXT) | instid1(VALU_DEP_3)
	v_fmac_f32_e32 v185, v110, v8
	v_fmac_f32_e32 v188, v110, v2
	s_wait_loadcnt 0x1
	v_fma_f32 v186, v108, v9, v12
	scratch_load_b128 v[12:15], off, off offset:3780 ; 16-byte Folded Reload
	s_wait_loadcnt 0x1
	v_fma_f32 v189, v108, v3, v6
	scratch_load_b128 v[6:9], off, off offset:3828 ; 16-byte Folded Reload
	v_fmac_f32_e32 v186, v109, v10
	s_delay_alu instid0(VALU_DEP_1) | instskip(NEXT) | instid1(VALU_DEP_1)
	v_dual_fmac_f32 v189, v109, v4 :: v_dual_fmac_f32 v186, v110, v11
	v_fmac_f32_e32 v189, v110, v5
	s_wait_loadcnt 0x1
	v_fma_f32 v187, v108, v12, v15
	s_wait_loadcnt 0x0
	v_fma_f32 v190, v108, v6, v9
	scratch_load_b128 v[9:12], off, off offset:3844 ; 16-byte Folded Reload
	v_fmac_f32_e32 v187, v109, v13
	v_fmac_f32_e32 v190, v109, v7
	scratch_load_b128 v[4:7], off, off offset:3876 ; 16-byte Folded Reload
	v_fmac_f32_e32 v187, v110, v14
	v_fmac_f32_e32 v190, v110, v8
	s_wait_loadcnt 0x1
	v_fma_f32 v191, v108, v9, v12
	scratch_load_b128 v[12:15], off, off offset:3860 ; 16-byte Folded Reload
	v_fmac_f32_e32 v191, v109, v10
	s_wait_loadcnt 0x1
	v_fma_f32 v1, v108, v4, v7
	scratch_load_b128 v[7:10], off, off offset:3892 ; 16-byte Folded Reload
	v_fmac_f32_e32 v191, v110, v11
	v_fmac_f32_e32 v1, v109, v5
	s_delay_alu instid0(VALU_DEP_1) | instskip(SKIP_2) | instid1(VALU_DEP_1)
	v_fmac_f32_e32 v1, v110, v6
	s_wait_loadcnt 0x1
	v_fma_f32 v0, v108, v12, v15
	v_fmac_f32_e32 v0, v109, v13
	s_wait_loadcnt 0x0
	v_fma_f32 v2, v108, v7, v10
	scratch_load_b128 v[10:13], off, off offset:3908 ; 16-byte Folded Reload
	v_fmac_f32_e32 v0, v110, v14
	v_fmac_f32_e32 v2, v109, v8
	s_delay_alu instid0(VALU_DEP_1) | instskip(SKIP_4) | instid1(VALU_DEP_1)
	v_fmac_f32_e32 v2, v110, v9
	s_wait_loadcnt 0x0
	v_fma_f32 v3, v108, v10, v13
	scratch_load_b128 v[13:16], off, off offset:3924 ; 16-byte Folded Reload
	v_fmac_f32_e32 v3, v109, v11
	v_fmac_f32_e32 v3, v110, v12
	scratch_load_b128 v[9:12], off, off offset:3956 ; 16-byte Folded Reload
	s_wait_loadcnt 0x1
	v_fma_f32 v4, v108, v13, v16
	scratch_load_b128 v[16:19], off, off offset:3940 ; 16-byte Folded Reload
	v_fmac_f32_e32 v4, v109, v14
	s_delay_alu instid0(VALU_DEP_1) | instskip(SKIP_4) | instid1(VALU_DEP_1)
	v_fmac_f32_e32 v4, v110, v15
	s_wait_loadcnt 0x1
	v_fma_f32 v6, v108, v9, v12
	scratch_load_b128 v[12:15], off, off offset:3972 ; 16-byte Folded Reload
	v_fmac_f32_e32 v6, v109, v10
	v_fmac_f32_e32 v6, v110, v11
	s_wait_loadcnt 0x1
	v_fma_f32 v5, v108, v16, v19
	s_delay_alu instid0(VALU_DEP_1) | instskip(NEXT) | instid1(VALU_DEP_1)
	v_fmac_f32_e32 v5, v109, v17
	v_fmac_f32_e32 v5, v110, v18
	s_wait_loadcnt 0x0
	v_fma_f32 v7, v108, v12, v15
	scratch_load_b128 v[15:18], off, off offset:3988 ; 16-byte Folded Reload
	v_fmac_f32_e32 v7, v109, v13
	s_delay_alu instid0(VALU_DEP_1) | instskip(SKIP_4) | instid1(VALU_DEP_1)
	v_fmac_f32_e32 v7, v110, v14
	s_wait_loadcnt 0x0
	v_fma_f32 v8, v108, v15, v18
	scratch_load_b128 v[18:21], off, off offset:4004 ; 16-byte Folded Reload
	v_fmac_f32_e32 v8, v109, v16
	v_fmac_f32_e32 v8, v110, v17
	scratch_load_b128 v[14:17], off, off offset:4036 ; 16-byte Folded Reload
	s_wait_loadcnt 0x1
	v_fma_f32 v9, v108, v18, v21
	scratch_load_b128 v[21:24], off, off offset:4020 ; 16-byte Folded Reload
	v_fmac_f32_e32 v9, v109, v19
	s_delay_alu instid0(VALU_DEP_1) | instskip(SKIP_4) | instid1(VALU_DEP_1)
	v_fmac_f32_e32 v9, v110, v20
	s_wait_loadcnt 0x1
	v_fma_f32 v11, v108, v14, v17
	scratch_load_b128 v[17:20], off, off offset:4052 ; 16-byte Folded Reload
	v_fmac_f32_e32 v11, v109, v15
	v_fmac_f32_e32 v11, v110, v16
	s_wait_loadcnt 0x1
	v_fma_f32 v10, v108, v21, v24
	s_delay_alu instid0(VALU_DEP_1) | instskip(NEXT) | instid1(VALU_DEP_1)
	v_fmac_f32_e32 v10, v109, v22
	v_fmac_f32_e32 v10, v110, v23
	s_wait_loadcnt 0x0
	v_fma_f32 v12, v108, v17, v20
	scratch_load_b128 v[20:23], off, off offset:4068 ; 16-byte Folded Reload
	;; [unrolled: 28-line block ×8, first 2 shown]
	v_fmac_f32_e32 v42, v109, v48
	s_delay_alu instid0(VALU_DEP_1) | instskip(SKIP_4) | instid1(VALU_DEP_1)
	v_fmac_f32_e32 v42, v110, v49
	s_wait_loadcnt 0x0
	v_fma_f32 v43, v108, v50, v53
	scratch_load_b128 v[53:56], off, off offset:4564 ; 16-byte Folded Reload
	v_fmac_f32_e32 v43, v109, v51
	v_fmac_f32_e32 v43, v110, v52
	scratch_load_b128 v[49:52], off, off offset:4596 ; 16-byte Folded Reload
	s_wait_loadcnt 0x1
	v_fma_f32 v44, v108, v53, v56
	scratch_load_b128 v[56:59], off, off offset:4580 ; 16-byte Folded Reload
	v_fmac_f32_e32 v44, v109, v54
	s_delay_alu instid0(VALU_DEP_1)
	v_fmac_f32_e32 v44, v110, v55
	s_wait_loadcnt 0x1
	v_fma_f32 v46, v108, v49, v52
	scratch_load_b128 v[52:55], off, off offset:4612 ; 16-byte Folded Reload
	v_fma_f32 v49, v108, v111, v114
	scratch_load_b128 v[114:117], off, off offset:4660 ; 16-byte Folded Reload
	v_fmac_f32_e32 v46, v109, v50
	s_delay_alu instid0(VALU_DEP_1) | instskip(NEXT) | instid1(VALU_DEP_1)
	v_dual_fmac_f32 v49, v109, v112 :: v_dual_fmac_f32 v46, v110, v51
	v_fmac_f32_e32 v49, v110, v113
	s_wait_loadcnt 0x2
	v_fma_f32 v45, v108, v56, v59
	s_delay_alu instid0(VALU_DEP_1) | instskip(NEXT) | instid1(VALU_DEP_1)
	v_fmac_f32_e32 v45, v109, v57
	v_fmac_f32_e32 v45, v110, v58
	s_wait_loadcnt 0x1
	v_fma_f32 v47, v108, v52, v55
	scratch_load_b128 v[55:58], off, off offset:4628 ; 16-byte Folded Reload
	s_wait_loadcnt 0x1
	v_fma_f32 v50, v108, v114, v117
	scratch_load_b128 v[111:114], off, off offset:4708 ; 16-byte Folded Reload
	v_fmac_f32_e32 v47, v109, v53
	s_delay_alu instid0(VALU_DEP_1) | instskip(NEXT) | instid1(VALU_DEP_1)
	v_dual_fmac_f32 v50, v109, v115 :: v_dual_fmac_f32 v47, v110, v54
	v_fmac_f32_e32 v50, v110, v116
	s_wait_loadcnt 0x1
	v_fma_f32 v48, v108, v55, v58
	s_wait_loadcnt 0x0
	v_fma_f32 v53, v108, v111, v114
	scratch_load_b128 v[114:117], off, off offset:4724 ; 16-byte Folded Reload
	v_fmac_f32_e32 v48, v109, v56
	s_delay_alu instid0(VALU_DEP_1)
	v_dual_fmac_f32 v53, v109, v112 :: v_dual_fmac_f32 v48, v110, v57
	scratch_load_b128 v[54:57], off, off offset:4676 ; 16-byte Folded Reload
	v_fmac_f32_e32 v53, v110, v113
	s_wait_loadcnt 0x0
	v_fma_f32 v51, v108, v54, v57
	scratch_load_b128 v[57:60], off, off offset:4692 ; 16-byte Folded Reload
	v_fma_f32 v54, v108, v114, v117
	s_clause 0x1
	scratch_load_b128 v[117:120], off, off offset:4740
	scratch_load_b128 v[111:114], off, off offset:4756
	v_fmac_f32_e32 v51, v109, v55
	s_delay_alu instid0(VALU_DEP_1) | instskip(NEXT) | instid1(VALU_DEP_1)
	v_dual_fmac_f32 v54, v109, v115 :: v_dual_fmac_f32 v51, v110, v56
	v_fmac_f32_e32 v54, v110, v116
	s_wait_loadcnt 0x2
	v_fma_f32 v52, v108, v57, v60
	s_wait_loadcnt 0x1
	v_fma_f32 v55, v108, v117, v120
	;; [unrolled: 2-line block ×3, first 2 shown]
	scratch_load_b128 v[114:117], off, off offset:4772 ; 16-byte Folded Reload
	v_fmac_f32_e32 v52, v109, v58
	v_fmac_f32_e32 v55, v109, v118
	;; [unrolled: 1-line block ×3, first 2 shown]
	s_delay_alu instid0(VALU_DEP_3) | instskip(NEXT) | instid1(VALU_DEP_3)
	v_fmac_f32_e32 v52, v110, v59
	v_fmac_f32_e32 v55, v110, v119
	s_delay_alu instid0(VALU_DEP_3) | instskip(SKIP_4) | instid1(VALU_DEP_1)
	v_fmac_f32_e32 v56, v110, v113
	s_wait_loadcnt 0x0
	v_fma_f32 v57, v108, v114, v117
	scratch_load_b128 v[117:120], off, off offset:4788 ; 16-byte Folded Reload
	v_fmac_f32_e32 v57, v109, v115
	v_fmac_f32_e32 v57, v110, v116
	s_wait_loadcnt 0x0
	v_fma_f32 v58, v108, v117, v120
	scratch_load_b128 v[120:123], off, off offset:4804 ; 16-byte Folded Reload
	v_fmac_f32_e32 v58, v109, v118
	s_delay_alu instid0(VALU_DEP_1) | instskip(SKIP_4) | instid1(VALU_DEP_1)
	v_fmac_f32_e32 v58, v110, v119
	s_wait_loadcnt 0x0
	v_fma_f32 v59, v108, v120, v123
	scratch_load_b128 v[123:126], off, off offset:4820 ; 16-byte Folded Reload
	v_fmac_f32_e32 v59, v109, v121
	v_fmac_f32_e32 v59, v110, v122
	s_wait_loadcnt 0x0
	v_fma_f32 v60, v108, v123, v126
	s_delay_alu instid0(VALU_DEP_1) | instskip(NEXT) | instid1(VALU_DEP_1)
	v_fmac_f32_e32 v60, v109, v124
	v_fmac_f32_e32 v60, v110, v125
	s_clause 0xf
	scratch_load_b128 v[128:131], off, off
	scratch_load_b128 v[124:127], off, off offset:16
	scratch_load_b128 v[120:123], off, off offset:32
	scratch_load_b128 v[116:119], off, off offset:48
	scratch_load_b128 v[112:115], off, off offset:64
	scratch_load_b128 v[108:111], off, off offset:80
	scratch_load_b128 v[172:175], off, off offset:96
	scratch_load_b128 v[168:171], off, off offset:112
	scratch_load_b128 v[164:167], off, off offset:128
	scratch_load_b128 v[160:163], off, off offset:144
	scratch_load_b128 v[156:159], off, off offset:160
	scratch_load_b128 v[152:155], off, off offset:176
	scratch_load_b128 v[148:151], off, off offset:192
	scratch_load_b128 v[144:147], off, off offset:208
	scratch_load_b128 v[140:143], off, off offset:224
	scratch_load_b128 v[136:139], off, off offset:240
.LBB6_28:                               ;   Parent Loop BB6_27 Depth=1
                                        ; =>  This Inner Loop Header: Depth=2
	global_load_b128 v[176:179], v63, s[14:15] offset:-8
	s_add_nc_u64 s[14:15], s[14:15], 16
	s_wait_loadcnt 0x0
	v_ashrrev_i32_e32 v62, 31, v179
	v_mov_b32_e32 v61, v179
	s_delay_alu instid0(VALU_DEP_1) | instskip(NEXT) | instid1(VALU_DEP_1)
	v_lshlrev_b64_e32 v[61:62], 4, v[61:62]
	v_add_co_u32 v61, vcc_lo, s6, v61
	s_wait_alu 0xfffd
	s_delay_alu instid0(VALU_DEP_2)
	v_add_co_ci_u32_e64 v62, null, s7, v62, vcc_lo
	global_load_b128 v[62:65], v[61:62], off
	s_wait_loadcnt 0x0
	v_add_f32_e32 v179, v133, v63
	v_readfirstlane_b32 s0, v62
	v_readfirstlane_b32 s30, v64
	s_delay_alu instid0(VALU_DEP_3) | instskip(SKIP_1) | instid1(VALU_DEP_3)
	v_div_scale_f32 v61, null, v179, v179, 1.0
	s_wait_alu 0xfffe
	s_cmp_eq_u32 s0, 0x46
	s_cselect_b32 s26, -1, 0
	s_delay_alu instid0(VALU_DEP_1)
	v_xor_b32_e32 v62, 0x80000000, v61
	v_rcp_f32_e32 v61, v61
	s_wait_alu 0xfffe
	s_and_b32 s26, s26, s18
	s_wait_alu 0xfffe
	s_and_b32 s26, s26, exec_lo
	s_cselect_b32 s29, 4.0, 2.0
	s_cselect_b32 s31, 0x3e800000, 0.5
	s_cmp_eq_u32 s0, 0x45
	s_cselect_b32 s0, -1, 0
	s_delay_alu instid0(TRANS32_DEP_1) | instskip(SKIP_3) | instid1(VALU_DEP_1)
	v_fma_f32 v63, v62, v61, 1.0
	s_wait_alu 0xfffe
	s_or_b32 s27, s0, s19
	s_cmp_gt_f32 s30, 0
	v_fmac_f32_e32 v61, v63, v61
	v_div_scale_f32 v63, vcc_lo, 1.0, v179, 1.0
	s_cselect_b32 s0, -1, 0
	s_cmp_neq_f32 s30, 0
	v_mul_f32_e32 v64, v63, v61
	s_cselect_b32 s26, -1, 0
	s_cmp_lt_f32 s30, 0
	s_delay_alu instid0(VALU_DEP_1) | instskip(SKIP_1) | instid1(SALU_CYCLE_1)
	v_fma_f32 v132, v62, v64, v63
	s_cselect_b32 s33, -1, 0
	s_and_b32 s28, s33, exec_lo
	s_delay_alu instid0(VALU_DEP_1)
	v_fmac_f32_e32 v64, v132, v61
	s_cselect_b32 s28, s21, s22
	s_and_b32 s33, s33, s17
	s_xor_b32 s34, s30, 0x80000000
	s_and_b32 s33, s33, exec_lo
	v_fmac_f32_e32 v63, v62, v64
	s_wait_alu 0xfffe
	v_div_scale_f32 v62, null, s28, s28, 1.0
	s_cselect_b32 s30, s34, s30
	s_and_b32 s0, s0, s20
	s_wait_alu 0xfffd
	v_div_fmas_f32 v61, v63, v61, v64
	v_xor_b32_e32 v63, 0x80000000, v62
	v_rcp_f32_e32 v62, v62
	s_wait_alu 0xfffe
	s_and_b32 s0, s0, exec_lo
	s_cselect_b32 s0, s23, s16
	v_div_fixup_f32 v61, v61, v179, 1.0
	s_wait_alu 0xfffe
	s_add_f32 s30, s30, s0
	s_add_co_i32 s25, s25, -1
	s_delay_alu instid0(TRANS32_DEP_1) | instskip(NEXT) | instid1(VALU_DEP_1)
	v_fma_f32 v64, v63, v62, 1.0
	v_fmac_f32_e32 v62, v64, v62
	v_div_scale_f32 v64, vcc_lo, 1.0, s28, 1.0
	s_delay_alu instid0(VALU_DEP_1) | instskip(NEXT) | instid1(VALU_DEP_1)
	v_mul_f32_e32 v132, v64, v62
	v_fma_f32 v134, v63, v132, v64
	s_delay_alu instid0(VALU_DEP_1) | instskip(SKIP_1) | instid1(VALU_DEP_2)
	v_fmac_f32_e32 v132, v134, v62
	v_mul_f32_e32 v134, v135, v65
	v_fmac_f32_e32 v64, v63, v132
	v_sub_f32_e32 v63, v107, v177
	s_wait_alu 0xfffd
	s_delay_alu instid0(VALU_DEP_2) | instskip(NEXT) | instid1(VALU_DEP_2)
	v_div_fmas_f32 v62, v64, v62, v132
	v_dual_mul_f32 v63, v63, v63 :: v_dual_sub_f32 v64, v180, v178
	s_delay_alu instid0(VALU_DEP_2) | instskip(SKIP_1) | instid1(VALU_DEP_1)
	v_div_fixup_f32 v132, v62, s28, 1.0
	v_sub_f32_e32 v62, v106, v176
	v_fmac_f32_e32 v63, v62, v62
	s_delay_alu instid0(VALU_DEP_1) | instskip(NEXT) | instid1(VALU_DEP_1)
	v_fmac_f32_e32 v63, v64, v64
	v_cmp_gt_f32_e32 vcc_lo, 0xf800000, v63
	v_mul_f32_e32 v62, 0x4f800000, v63
	s_wait_alu 0xfffd
	s_delay_alu instid0(VALU_DEP_1) | instskip(NEXT) | instid1(VALU_DEP_1)
	v_cndmask_b32_e32 v62, v63, v62, vcc_lo
	v_sqrt_f32_e32 v63, v62
	s_delay_alu instid0(TRANS32_DEP_1) | instskip(NEXT) | instid1(VALU_DEP_1)
	v_add_nc_u32_e32 v64, -1, v63
	v_fma_f32 v65, -v64, v63, v62
	s_delay_alu instid0(VALU_DEP_1) | instskip(SKIP_2) | instid1(VALU_DEP_2)
	v_cmp_ge_f32_e64 s0, 0, v65
	v_add_nc_u32_e32 v65, 1, v63
	s_wait_alu 0xf1ff
	v_cndmask_b32_e64 v64, v63, v64, s0
	s_delay_alu instid0(VALU_DEP_2) | instskip(NEXT) | instid1(VALU_DEP_1)
	v_fma_f32 v63, -v65, v63, v62
	v_cmp_lt_f32_e64 s0, 0, v63
	s_wait_alu 0xf1ff
	s_delay_alu instid0(VALU_DEP_1) | instskip(NEXT) | instid1(VALU_DEP_1)
	v_cndmask_b32_e64 v63, v64, v65, s0
	v_mul_f32_e32 v64, 0x37800000, v63
	s_delay_alu instid0(VALU_DEP_1) | instskip(SKIP_2) | instid1(VALU_DEP_2)
	v_cndmask_b32_e32 v63, v63, v64, vcc_lo
	v_cmp_class_f32_e64 vcc_lo, v62, 0x260
	s_wait_alu 0xfffd
	v_cndmask_b32_e32 v62, v63, v62, vcc_lo
	s_delay_alu instid0(VALU_DEP_1) | instskip(SKIP_1) | instid1(VALU_DEP_2)
	v_sub_f32_e32 v63, v62, v179
	v_fma_f32 v62, -v61, v62, 1.0
	v_cmp_gt_f32_e32 vcc_lo, 0, v63
	v_cmp_gt_f32_e64 s0, s29, v63
	s_wait_alu 0xfffd
	v_cndmask_b32_e64 v64, 0, 0x42980000, vcc_lo
	s_delay_alu instid0(VALU_DEP_1) | instskip(SKIP_4) | instid1(VALU_DEP_3)
	v_fmac_f32_e32 v128, v62, v64
	v_fma_f32 v62, -s31, v63, 1.0
	s_wait_alu 0xf1ff
	v_cndmask_b32_e64 v64, 0, 1.0, s0
	v_cmp_gt_f32_e64 s0, s28, v63
	v_cndmask_b32_e64 v62, v62, 1.0, vcc_lo
	s_and_b32 s0, s26, s0
	s_delay_alu instid0(VALU_DEP_1) | instskip(SKIP_1) | instid1(VALU_DEP_2)
	v_mul_f32_e32 v62, v64, v62
	v_sub_f32_e32 v64, v183, v178
	v_mul_f32_e32 v62, v134, v62
	s_delay_alu instid0(VALU_DEP_1) | instskip(NEXT) | instid1(VALU_DEP_1)
	v_cndmask_b32_e64 v62, v62, -|v62|, s27
	v_fmac_f32_e32 v128, 0x42340000, v62
	v_fma_f32 v62, -v132, v63, 1.0
	s_wait_alu 0xfffe
	v_cndmask_b32_e64 v63, 0, 1.0, s0
	s_delay_alu instid0(VALU_DEP_2) | instskip(NEXT) | instid1(VALU_DEP_2)
	v_cndmask_b32_e64 v62, v62, 1.0, vcc_lo
	v_mul_f32_e32 v63, s30, v63
	s_delay_alu instid0(VALU_DEP_1) | instskip(SKIP_1) | instid1(VALU_DEP_1)
	v_fmac_f32_e32 v128, v62, v63
	v_dual_sub_f32 v63, v182, v177 :: v_dual_sub_f32 v62, v181, v176
	v_mul_f32_e32 v63, v63, v63
	s_delay_alu instid0(VALU_DEP_1) | instskip(NEXT) | instid1(VALU_DEP_1)
	v_fmac_f32_e32 v63, v62, v62
	v_fmac_f32_e32 v63, v64, v64
	s_delay_alu instid0(VALU_DEP_1) | instskip(SKIP_2) | instid1(VALU_DEP_1)
	v_cmp_gt_f32_e32 vcc_lo, 0xf800000, v63
	v_mul_f32_e32 v62, 0x4f800000, v63
	s_wait_alu 0xfffd
	v_cndmask_b32_e32 v62, v63, v62, vcc_lo
	s_delay_alu instid0(VALU_DEP_1) | instskip(NEXT) | instid1(TRANS32_DEP_1)
	v_sqrt_f32_e32 v63, v62
	v_add_nc_u32_e32 v64, -1, v63
	s_delay_alu instid0(VALU_DEP_1) | instskip(NEXT) | instid1(VALU_DEP_1)
	v_fma_f32 v65, -v64, v63, v62
	v_cmp_ge_f32_e64 s0, 0, v65
	v_add_nc_u32_e32 v65, 1, v63
	s_wait_alu 0xf1ff
	s_delay_alu instid0(VALU_DEP_2) | instskip(NEXT) | instid1(VALU_DEP_2)
	v_cndmask_b32_e64 v64, v63, v64, s0
	v_fma_f32 v63, -v65, v63, v62
	s_delay_alu instid0(VALU_DEP_1) | instskip(SKIP_1) | instid1(VALU_DEP_1)
	v_cmp_lt_f32_e64 s0, 0, v63
	s_wait_alu 0xf1ff
	v_cndmask_b32_e64 v63, v64, v65, s0
	s_delay_alu instid0(VALU_DEP_1) | instskip(NEXT) | instid1(VALU_DEP_1)
	v_mul_f32_e32 v64, 0x37800000, v63
	v_cndmask_b32_e32 v63, v63, v64, vcc_lo
	v_cmp_class_f32_e64 vcc_lo, v62, 0x260
	s_wait_alu 0xfffd
	s_delay_alu instid0(VALU_DEP_2) | instskip(NEXT) | instid1(VALU_DEP_1)
	v_cndmask_b32_e32 v62, v63, v62, vcc_lo
	v_sub_f32_e32 v63, v62, v179
	v_fma_f32 v62, -v61, v62, 1.0
	s_delay_alu instid0(VALU_DEP_2) | instskip(SKIP_3) | instid1(VALU_DEP_1)
	v_cmp_gt_f32_e32 vcc_lo, 0, v63
	v_cmp_gt_f32_e64 s0, s29, v63
	s_wait_alu 0xfffd
	v_cndmask_b32_e64 v64, 0, 0x42980000, vcc_lo
	v_fmac_f32_e32 v129, v62, v64
	v_fma_f32 v62, -s31, v63, 1.0
	s_wait_alu 0xf1ff
	v_cndmask_b32_e64 v64, 0, 1.0, s0
	v_cmp_gt_f32_e64 s0, s28, v63
	s_delay_alu instid0(VALU_DEP_3) | instskip(SKIP_1) | instid1(VALU_DEP_1)
	v_cndmask_b32_e64 v62, v62, 1.0, vcc_lo
	s_and_b32 s0, s26, s0
	v_mul_f32_e32 v62, v64, v62
	v_sub_f32_e32 v64, v186, v178
	s_delay_alu instid0(VALU_DEP_2) | instskip(NEXT) | instid1(VALU_DEP_1)
	v_mul_f32_e32 v62, v134, v62
	v_cndmask_b32_e64 v62, v62, -|v62|, s27
	s_delay_alu instid0(VALU_DEP_1) | instskip(SKIP_3) | instid1(VALU_DEP_2)
	v_fmac_f32_e32 v129, 0x42340000, v62
	v_fma_f32 v62, -v132, v63, 1.0
	s_wait_alu 0xfffe
	v_cndmask_b32_e64 v63, 0, 1.0, s0
	v_cndmask_b32_e64 v62, v62, 1.0, vcc_lo
	s_delay_alu instid0(VALU_DEP_2) | instskip(NEXT) | instid1(VALU_DEP_1)
	v_mul_f32_e32 v63, s30, v63
	v_dual_fmac_f32 v129, v62, v63 :: v_dual_sub_f32 v62, v184, v176
	v_sub_f32_e32 v63, v185, v177
	s_delay_alu instid0(VALU_DEP_1) | instskip(NEXT) | instid1(VALU_DEP_1)
	v_mul_f32_e32 v63, v63, v63
	v_fmac_f32_e32 v63, v62, v62
	s_delay_alu instid0(VALU_DEP_1) | instskip(NEXT) | instid1(VALU_DEP_1)
	v_fmac_f32_e32 v63, v64, v64
	v_cmp_gt_f32_e32 vcc_lo, 0xf800000, v63
	v_mul_f32_e32 v62, 0x4f800000, v63
	s_wait_alu 0xfffd
	s_delay_alu instid0(VALU_DEP_1) | instskip(NEXT) | instid1(VALU_DEP_1)
	v_cndmask_b32_e32 v62, v63, v62, vcc_lo
	v_sqrt_f32_e32 v63, v62
	s_delay_alu instid0(TRANS32_DEP_1) | instskip(NEXT) | instid1(VALU_DEP_1)
	v_add_nc_u32_e32 v64, -1, v63
	v_fma_f32 v65, -v64, v63, v62
	s_delay_alu instid0(VALU_DEP_1) | instskip(SKIP_2) | instid1(VALU_DEP_2)
	v_cmp_ge_f32_e64 s0, 0, v65
	v_add_nc_u32_e32 v65, 1, v63
	s_wait_alu 0xf1ff
	v_cndmask_b32_e64 v64, v63, v64, s0
	s_delay_alu instid0(VALU_DEP_2) | instskip(NEXT) | instid1(VALU_DEP_1)
	v_fma_f32 v63, -v65, v63, v62
	v_cmp_lt_f32_e64 s0, 0, v63
	s_wait_alu 0xf1ff
	s_delay_alu instid0(VALU_DEP_1) | instskip(NEXT) | instid1(VALU_DEP_1)
	v_cndmask_b32_e64 v63, v64, v65, s0
	v_mul_f32_e32 v64, 0x37800000, v63
	s_delay_alu instid0(VALU_DEP_1) | instskip(SKIP_2) | instid1(VALU_DEP_2)
	v_cndmask_b32_e32 v63, v63, v64, vcc_lo
	v_cmp_class_f32_e64 vcc_lo, v62, 0x260
	s_wait_alu 0xfffd
	v_cndmask_b32_e32 v62, v63, v62, vcc_lo
	s_delay_alu instid0(VALU_DEP_1) | instskip(SKIP_1) | instid1(VALU_DEP_2)
	v_sub_f32_e32 v63, v62, v179
	v_fma_f32 v62, -v61, v62, 1.0
	v_cmp_gt_f32_e32 vcc_lo, 0, v63
	v_cmp_gt_f32_e64 s0, s29, v63
	s_wait_alu 0xfffd
	v_cndmask_b32_e64 v64, 0, 0x42980000, vcc_lo
	s_delay_alu instid0(VALU_DEP_1) | instskip(SKIP_3) | instid1(VALU_DEP_2)
	v_fmac_f32_e32 v130, v62, v64
	v_fma_f32 v62, -s31, v63, 1.0
	s_wait_alu 0xf1ff
	v_cndmask_b32_e64 v64, 0, 1.0, s0
	v_cndmask_b32_e64 v62, v62, 1.0, vcc_lo
	s_delay_alu instid0(VALU_DEP_1) | instskip(SKIP_2) | instid1(VALU_DEP_3)
	v_mul_f32_e32 v62, v64, v62
	v_cmp_gt_f32_e64 s0, s28, v63
	v_sub_f32_e32 v64, v189, v178
	v_mul_f32_e32 v62, v134, v62
	s_and_b32 s0, s26, s0
	s_delay_alu instid0(VALU_DEP_1) | instskip(NEXT) | instid1(VALU_DEP_1)
	v_cndmask_b32_e64 v62, v62, -|v62|, s27
	v_fmac_f32_e32 v130, 0x42340000, v62
	v_fma_f32 v62, -v132, v63, 1.0
	s_wait_alu 0xfffe
	v_cndmask_b32_e64 v63, 0, 1.0, s0
	s_delay_alu instid0(VALU_DEP_2) | instskip(NEXT) | instid1(VALU_DEP_2)
	v_cndmask_b32_e64 v62, v62, 1.0, vcc_lo
	v_mul_f32_e32 v63, s30, v63
	s_delay_alu instid0(VALU_DEP_1) | instskip(SKIP_1) | instid1(VALU_DEP_2)
	v_dual_fmac_f32 v130, v62, v63 :: v_dual_sub_f32 v63, v188, v177
	v_sub_f32_e32 v62, v187, v176
	v_mul_f32_e32 v63, v63, v63
	s_delay_alu instid0(VALU_DEP_1) | instskip(NEXT) | instid1(VALU_DEP_1)
	v_fmac_f32_e32 v63, v62, v62
	v_fmac_f32_e32 v63, v64, v64
	s_delay_alu instid0(VALU_DEP_1) | instskip(SKIP_2) | instid1(VALU_DEP_1)
	v_cmp_gt_f32_e32 vcc_lo, 0xf800000, v63
	v_mul_f32_e32 v62, 0x4f800000, v63
	s_wait_alu 0xfffd
	v_cndmask_b32_e32 v62, v63, v62, vcc_lo
	s_delay_alu instid0(VALU_DEP_1) | instskip(NEXT) | instid1(TRANS32_DEP_1)
	v_sqrt_f32_e32 v63, v62
	v_add_nc_u32_e32 v64, -1, v63
	s_delay_alu instid0(VALU_DEP_1) | instskip(NEXT) | instid1(VALU_DEP_1)
	v_fma_f32 v65, -v64, v63, v62
	v_cmp_ge_f32_e64 s0, 0, v65
	v_add_nc_u32_e32 v65, 1, v63
	s_wait_alu 0xf1ff
	s_delay_alu instid0(VALU_DEP_2) | instskip(NEXT) | instid1(VALU_DEP_2)
	v_cndmask_b32_e64 v64, v63, v64, s0
	v_fma_f32 v63, -v65, v63, v62
	s_delay_alu instid0(VALU_DEP_1) | instskip(SKIP_1) | instid1(VALU_DEP_1)
	v_cmp_lt_f32_e64 s0, 0, v63
	s_wait_alu 0xf1ff
	v_cndmask_b32_e64 v63, v64, v65, s0
	s_delay_alu instid0(VALU_DEP_1) | instskip(NEXT) | instid1(VALU_DEP_1)
	v_mul_f32_e32 v64, 0x37800000, v63
	v_cndmask_b32_e32 v63, v63, v64, vcc_lo
	v_cmp_class_f32_e64 vcc_lo, v62, 0x260
	s_wait_alu 0xfffd
	s_delay_alu instid0(VALU_DEP_2) | instskip(NEXT) | instid1(VALU_DEP_1)
	v_cndmask_b32_e32 v62, v63, v62, vcc_lo
	v_sub_f32_e32 v63, v62, v179
	v_fma_f32 v62, -v61, v62, 1.0
	s_delay_alu instid0(VALU_DEP_2) | instskip(SKIP_3) | instid1(VALU_DEP_1)
	v_cmp_gt_f32_e32 vcc_lo, 0, v63
	v_cmp_gt_f32_e64 s0, s29, v63
	s_wait_alu 0xfffd
	v_cndmask_b32_e64 v64, 0, 0x42980000, vcc_lo
	v_fmac_f32_e32 v131, v62, v64
	v_fma_f32 v62, -s31, v63, 1.0
	s_wait_alu 0xf1ff
	v_cndmask_b32_e64 v64, 0, 1.0, s0
	v_cmp_gt_f32_e64 s0, s28, v63
	s_delay_alu instid0(VALU_DEP_3) | instskip(SKIP_1) | instid1(VALU_DEP_1)
	v_cndmask_b32_e64 v62, v62, 1.0, vcc_lo
	s_and_b32 s0, s26, s0
	v_mul_f32_e32 v62, v64, v62
	v_sub_f32_e32 v64, v0, v178
	s_delay_alu instid0(VALU_DEP_2) | instskip(NEXT) | instid1(VALU_DEP_1)
	v_mul_f32_e32 v62, v134, v62
	v_cndmask_b32_e64 v62, v62, -|v62|, s27
	s_delay_alu instid0(VALU_DEP_1) | instskip(SKIP_3) | instid1(VALU_DEP_2)
	v_fmac_f32_e32 v131, 0x42340000, v62
	v_fma_f32 v62, -v132, v63, 1.0
	s_wait_alu 0xfffe
	v_cndmask_b32_e64 v63, 0, 1.0, s0
	v_cndmask_b32_e64 v62, v62, 1.0, vcc_lo
	s_delay_alu instid0(VALU_DEP_2) | instskip(NEXT) | instid1(VALU_DEP_1)
	v_mul_f32_e32 v63, s30, v63
	v_fmac_f32_e32 v131, v62, v63
	v_dual_sub_f32 v63, v191, v177 :: v_dual_sub_f32 v62, v190, v176
	s_delay_alu instid0(VALU_DEP_1) | instskip(NEXT) | instid1(VALU_DEP_1)
	v_mul_f32_e32 v63, v63, v63
	v_fmac_f32_e32 v63, v62, v62
	s_delay_alu instid0(VALU_DEP_1) | instskip(NEXT) | instid1(VALU_DEP_1)
	v_fmac_f32_e32 v63, v64, v64
	v_cmp_gt_f32_e32 vcc_lo, 0xf800000, v63
	v_mul_f32_e32 v62, 0x4f800000, v63
	s_wait_alu 0xfffd
	s_delay_alu instid0(VALU_DEP_1) | instskip(NEXT) | instid1(VALU_DEP_1)
	v_cndmask_b32_e32 v62, v63, v62, vcc_lo
	v_sqrt_f32_e32 v63, v62
	s_delay_alu instid0(TRANS32_DEP_1) | instskip(NEXT) | instid1(VALU_DEP_1)
	v_add_nc_u32_e32 v64, -1, v63
	v_fma_f32 v65, -v64, v63, v62
	s_delay_alu instid0(VALU_DEP_1) | instskip(SKIP_2) | instid1(VALU_DEP_2)
	v_cmp_ge_f32_e64 s0, 0, v65
	v_add_nc_u32_e32 v65, 1, v63
	s_wait_alu 0xf1ff
	v_cndmask_b32_e64 v64, v63, v64, s0
	s_delay_alu instid0(VALU_DEP_2) | instskip(NEXT) | instid1(VALU_DEP_1)
	v_fma_f32 v63, -v65, v63, v62
	v_cmp_lt_f32_e64 s0, 0, v63
	s_wait_alu 0xf1ff
	s_delay_alu instid0(VALU_DEP_1) | instskip(NEXT) | instid1(VALU_DEP_1)
	v_cndmask_b32_e64 v63, v64, v65, s0
	v_mul_f32_e32 v64, 0x37800000, v63
	s_delay_alu instid0(VALU_DEP_1) | instskip(SKIP_2) | instid1(VALU_DEP_2)
	v_cndmask_b32_e32 v63, v63, v64, vcc_lo
	v_cmp_class_f32_e64 vcc_lo, v62, 0x260
	s_wait_alu 0xfffd
	v_cndmask_b32_e32 v62, v63, v62, vcc_lo
	s_delay_alu instid0(VALU_DEP_1) | instskip(SKIP_1) | instid1(VALU_DEP_2)
	v_sub_f32_e32 v63, v62, v179
	v_fma_f32 v62, -v61, v62, 1.0
	v_cmp_gt_f32_e32 vcc_lo, 0, v63
	v_cmp_gt_f32_e64 s0, s29, v63
	s_wait_alu 0xfffd
	v_cndmask_b32_e64 v64, 0, 0x42980000, vcc_lo
	s_delay_alu instid0(VALU_DEP_1) | instskip(SKIP_4) | instid1(VALU_DEP_3)
	v_fmac_f32_e32 v124, v62, v64
	v_fma_f32 v62, -s31, v63, 1.0
	s_wait_alu 0xf1ff
	v_cndmask_b32_e64 v64, 0, 1.0, s0
	v_cmp_gt_f32_e64 s0, s28, v63
	v_cndmask_b32_e64 v62, v62, 1.0, vcc_lo
	s_and_b32 s0, s26, s0
	s_delay_alu instid0(VALU_DEP_1) | instskip(SKIP_1) | instid1(VALU_DEP_2)
	v_mul_f32_e32 v62, v64, v62
	v_sub_f32_e32 v64, v3, v178
	v_mul_f32_e32 v62, v134, v62
	s_delay_alu instid0(VALU_DEP_1) | instskip(NEXT) | instid1(VALU_DEP_1)
	v_cndmask_b32_e64 v62, v62, -|v62|, s27
	v_fmac_f32_e32 v124, 0x42340000, v62
	v_fma_f32 v62, -v132, v63, 1.0
	s_wait_alu 0xfffe
	v_cndmask_b32_e64 v63, 0, 1.0, s0
	s_delay_alu instid0(VALU_DEP_2) | instskip(NEXT) | instid1(VALU_DEP_2)
	v_cndmask_b32_e64 v62, v62, 1.0, vcc_lo
	v_mul_f32_e32 v63, s30, v63
	s_delay_alu instid0(VALU_DEP_1) | instskip(SKIP_1) | instid1(VALU_DEP_1)
	v_fmac_f32_e32 v124, v62, v63
	v_dual_sub_f32 v63, v2, v177 :: v_dual_sub_f32 v62, v1, v176
	v_mul_f32_e32 v63, v63, v63
	s_delay_alu instid0(VALU_DEP_1) | instskip(NEXT) | instid1(VALU_DEP_1)
	v_fmac_f32_e32 v63, v62, v62
	v_fmac_f32_e32 v63, v64, v64
	s_delay_alu instid0(VALU_DEP_1) | instskip(SKIP_2) | instid1(VALU_DEP_1)
	v_cmp_gt_f32_e32 vcc_lo, 0xf800000, v63
	v_mul_f32_e32 v62, 0x4f800000, v63
	s_wait_alu 0xfffd
	v_cndmask_b32_e32 v62, v63, v62, vcc_lo
	s_delay_alu instid0(VALU_DEP_1) | instskip(NEXT) | instid1(TRANS32_DEP_1)
	v_sqrt_f32_e32 v63, v62
	v_add_nc_u32_e32 v64, -1, v63
	s_delay_alu instid0(VALU_DEP_1) | instskip(NEXT) | instid1(VALU_DEP_1)
	v_fma_f32 v65, -v64, v63, v62
	v_cmp_ge_f32_e64 s0, 0, v65
	v_add_nc_u32_e32 v65, 1, v63
	s_wait_alu 0xf1ff
	s_delay_alu instid0(VALU_DEP_2) | instskip(NEXT) | instid1(VALU_DEP_2)
	v_cndmask_b32_e64 v64, v63, v64, s0
	v_fma_f32 v63, -v65, v63, v62
	s_delay_alu instid0(VALU_DEP_1) | instskip(SKIP_1) | instid1(VALU_DEP_1)
	v_cmp_lt_f32_e64 s0, 0, v63
	s_wait_alu 0xf1ff
	v_cndmask_b32_e64 v63, v64, v65, s0
	s_delay_alu instid0(VALU_DEP_1) | instskip(NEXT) | instid1(VALU_DEP_1)
	v_mul_f32_e32 v64, 0x37800000, v63
	v_cndmask_b32_e32 v63, v63, v64, vcc_lo
	v_cmp_class_f32_e64 vcc_lo, v62, 0x260
	s_wait_alu 0xfffd
	s_delay_alu instid0(VALU_DEP_2) | instskip(NEXT) | instid1(VALU_DEP_1)
	v_cndmask_b32_e32 v62, v63, v62, vcc_lo
	v_sub_f32_e32 v63, v62, v179
	v_fma_f32 v62, -v61, v62, 1.0
	s_delay_alu instid0(VALU_DEP_2) | instskip(SKIP_3) | instid1(VALU_DEP_1)
	v_cmp_gt_f32_e32 vcc_lo, 0, v63
	v_cmp_gt_f32_e64 s0, s29, v63
	s_wait_alu 0xfffd
	v_cndmask_b32_e64 v64, 0, 0x42980000, vcc_lo
	v_fmac_f32_e32 v125, v62, v64
	v_fma_f32 v62, -s31, v63, 1.0
	s_wait_alu 0xf1ff
	v_cndmask_b32_e64 v64, 0, 1.0, s0
	v_cmp_gt_f32_e64 s0, s28, v63
	s_delay_alu instid0(VALU_DEP_3) | instskip(SKIP_1) | instid1(VALU_DEP_1)
	v_cndmask_b32_e64 v62, v62, 1.0, vcc_lo
	s_and_b32 s0, s26, s0
	v_mul_f32_e32 v62, v64, v62
	v_sub_f32_e32 v64, v6, v178
	s_delay_alu instid0(VALU_DEP_2) | instskip(NEXT) | instid1(VALU_DEP_1)
	v_mul_f32_e32 v62, v134, v62
	v_cndmask_b32_e64 v62, v62, -|v62|, s27
	s_delay_alu instid0(VALU_DEP_1) | instskip(SKIP_3) | instid1(VALU_DEP_2)
	v_fmac_f32_e32 v125, 0x42340000, v62
	v_fma_f32 v62, -v132, v63, 1.0
	s_wait_alu 0xfffe
	v_cndmask_b32_e64 v63, 0, 1.0, s0
	v_cndmask_b32_e64 v62, v62, 1.0, vcc_lo
	s_delay_alu instid0(VALU_DEP_2) | instskip(NEXT) | instid1(VALU_DEP_1)
	v_mul_f32_e32 v63, s30, v63
	v_fmac_f32_e32 v125, v62, v63
	v_dual_sub_f32 v63, v5, v177 :: v_dual_sub_f32 v62, v4, v176
	s_delay_alu instid0(VALU_DEP_1) | instskip(NEXT) | instid1(VALU_DEP_1)
	v_mul_f32_e32 v63, v63, v63
	v_fmac_f32_e32 v63, v62, v62
	s_delay_alu instid0(VALU_DEP_1) | instskip(NEXT) | instid1(VALU_DEP_1)
	v_fmac_f32_e32 v63, v64, v64
	v_cmp_gt_f32_e32 vcc_lo, 0xf800000, v63
	v_mul_f32_e32 v62, 0x4f800000, v63
	s_wait_alu 0xfffd
	s_delay_alu instid0(VALU_DEP_1) | instskip(NEXT) | instid1(VALU_DEP_1)
	v_cndmask_b32_e32 v62, v63, v62, vcc_lo
	v_sqrt_f32_e32 v63, v62
	s_delay_alu instid0(TRANS32_DEP_1) | instskip(NEXT) | instid1(VALU_DEP_1)
	v_add_nc_u32_e32 v64, -1, v63
	v_fma_f32 v65, -v64, v63, v62
	s_delay_alu instid0(VALU_DEP_1) | instskip(SKIP_2) | instid1(VALU_DEP_2)
	v_cmp_ge_f32_e64 s0, 0, v65
	v_add_nc_u32_e32 v65, 1, v63
	s_wait_alu 0xf1ff
	v_cndmask_b32_e64 v64, v63, v64, s0
	s_delay_alu instid0(VALU_DEP_2) | instskip(NEXT) | instid1(VALU_DEP_1)
	v_fma_f32 v63, -v65, v63, v62
	v_cmp_lt_f32_e64 s0, 0, v63
	s_wait_alu 0xf1ff
	s_delay_alu instid0(VALU_DEP_1) | instskip(NEXT) | instid1(VALU_DEP_1)
	v_cndmask_b32_e64 v63, v64, v65, s0
	v_mul_f32_e32 v64, 0x37800000, v63
	s_delay_alu instid0(VALU_DEP_1) | instskip(SKIP_2) | instid1(VALU_DEP_2)
	v_cndmask_b32_e32 v63, v63, v64, vcc_lo
	v_cmp_class_f32_e64 vcc_lo, v62, 0x260
	s_wait_alu 0xfffd
	v_cndmask_b32_e32 v62, v63, v62, vcc_lo
	s_delay_alu instid0(VALU_DEP_1) | instskip(SKIP_1) | instid1(VALU_DEP_2)
	v_sub_f32_e32 v63, v62, v179
	v_fma_f32 v62, -v61, v62, 1.0
	v_cmp_gt_f32_e32 vcc_lo, 0, v63
	v_cmp_gt_f32_e64 s0, s29, v63
	s_wait_alu 0xfffd
	v_cndmask_b32_e64 v64, 0, 0x42980000, vcc_lo
	s_delay_alu instid0(VALU_DEP_1) | instskip(SKIP_3) | instid1(VALU_DEP_2)
	v_fmac_f32_e32 v126, v62, v64
	v_fma_f32 v62, -s31, v63, 1.0
	s_wait_alu 0xf1ff
	v_cndmask_b32_e64 v64, 0, 1.0, s0
	v_cndmask_b32_e64 v62, v62, 1.0, vcc_lo
	s_delay_alu instid0(VALU_DEP_1) | instskip(SKIP_2) | instid1(VALU_DEP_3)
	v_mul_f32_e32 v62, v64, v62
	v_cmp_gt_f32_e64 s0, s28, v63
	v_sub_f32_e32 v64, v9, v178
	v_mul_f32_e32 v62, v134, v62
	s_and_b32 s0, s26, s0
	s_delay_alu instid0(VALU_DEP_1) | instskip(NEXT) | instid1(VALU_DEP_1)
	v_cndmask_b32_e64 v62, v62, -|v62|, s27
	v_fmac_f32_e32 v126, 0x42340000, v62
	v_fma_f32 v62, -v132, v63, 1.0
	s_wait_alu 0xfffe
	v_cndmask_b32_e64 v63, 0, 1.0, s0
	s_delay_alu instid0(VALU_DEP_2) | instskip(NEXT) | instid1(VALU_DEP_2)
	v_cndmask_b32_e64 v62, v62, 1.0, vcc_lo
	v_mul_f32_e32 v63, s30, v63
	s_delay_alu instid0(VALU_DEP_1) | instskip(SKIP_1) | instid1(VALU_DEP_2)
	v_dual_fmac_f32 v126, v62, v63 :: v_dual_sub_f32 v63, v8, v177
	v_sub_f32_e32 v62, v7, v176
	v_mul_f32_e32 v63, v63, v63
	s_delay_alu instid0(VALU_DEP_1) | instskip(NEXT) | instid1(VALU_DEP_1)
	v_fmac_f32_e32 v63, v62, v62
	v_fmac_f32_e32 v63, v64, v64
	s_delay_alu instid0(VALU_DEP_1) | instskip(SKIP_2) | instid1(VALU_DEP_1)
	v_cmp_gt_f32_e32 vcc_lo, 0xf800000, v63
	v_mul_f32_e32 v62, 0x4f800000, v63
	s_wait_alu 0xfffd
	v_cndmask_b32_e32 v62, v63, v62, vcc_lo
	s_delay_alu instid0(VALU_DEP_1) | instskip(NEXT) | instid1(TRANS32_DEP_1)
	v_sqrt_f32_e32 v63, v62
	v_add_nc_u32_e32 v64, -1, v63
	s_delay_alu instid0(VALU_DEP_1) | instskip(NEXT) | instid1(VALU_DEP_1)
	v_fma_f32 v65, -v64, v63, v62
	v_cmp_ge_f32_e64 s0, 0, v65
	v_add_nc_u32_e32 v65, 1, v63
	s_wait_alu 0xf1ff
	s_delay_alu instid0(VALU_DEP_2) | instskip(NEXT) | instid1(VALU_DEP_2)
	v_cndmask_b32_e64 v64, v63, v64, s0
	v_fma_f32 v63, -v65, v63, v62
	s_delay_alu instid0(VALU_DEP_1) | instskip(SKIP_1) | instid1(VALU_DEP_1)
	v_cmp_lt_f32_e64 s0, 0, v63
	s_wait_alu 0xf1ff
	v_cndmask_b32_e64 v63, v64, v65, s0
	s_delay_alu instid0(VALU_DEP_1) | instskip(NEXT) | instid1(VALU_DEP_1)
	v_mul_f32_e32 v64, 0x37800000, v63
	v_cndmask_b32_e32 v63, v63, v64, vcc_lo
	v_cmp_class_f32_e64 vcc_lo, v62, 0x260
	s_wait_alu 0xfffd
	s_delay_alu instid0(VALU_DEP_2) | instskip(NEXT) | instid1(VALU_DEP_1)
	v_cndmask_b32_e32 v62, v63, v62, vcc_lo
	v_sub_f32_e32 v63, v62, v179
	v_fma_f32 v62, -v61, v62, 1.0
	s_delay_alu instid0(VALU_DEP_2) | instskip(SKIP_3) | instid1(VALU_DEP_1)
	v_cmp_gt_f32_e32 vcc_lo, 0, v63
	v_cmp_gt_f32_e64 s0, s29, v63
	s_wait_alu 0xfffd
	v_cndmask_b32_e64 v64, 0, 0x42980000, vcc_lo
	v_fmac_f32_e32 v127, v62, v64
	v_fma_f32 v62, -s31, v63, 1.0
	s_wait_alu 0xf1ff
	v_cndmask_b32_e64 v64, 0, 1.0, s0
	v_cmp_gt_f32_e64 s0, s28, v63
	s_delay_alu instid0(VALU_DEP_3) | instskip(SKIP_1) | instid1(VALU_DEP_1)
	v_cndmask_b32_e64 v62, v62, 1.0, vcc_lo
	s_and_b32 s0, s26, s0
	v_mul_f32_e32 v62, v64, v62
	v_sub_f32_e32 v64, v12, v178
	s_delay_alu instid0(VALU_DEP_2) | instskip(NEXT) | instid1(VALU_DEP_1)
	v_mul_f32_e32 v62, v134, v62
	v_cndmask_b32_e64 v62, v62, -|v62|, s27
	s_delay_alu instid0(VALU_DEP_1) | instskip(SKIP_3) | instid1(VALU_DEP_2)
	v_fmac_f32_e32 v127, 0x42340000, v62
	v_fma_f32 v62, -v132, v63, 1.0
	s_wait_alu 0xfffe
	v_cndmask_b32_e64 v63, 0, 1.0, s0
	v_cndmask_b32_e64 v62, v62, 1.0, vcc_lo
	s_delay_alu instid0(VALU_DEP_2) | instskip(NEXT) | instid1(VALU_DEP_1)
	v_mul_f32_e32 v63, s30, v63
	v_fmac_f32_e32 v127, v62, v63
	v_dual_sub_f32 v63, v11, v177 :: v_dual_sub_f32 v62, v10, v176
	s_delay_alu instid0(VALU_DEP_1) | instskip(NEXT) | instid1(VALU_DEP_1)
	v_mul_f32_e32 v63, v63, v63
	v_fmac_f32_e32 v63, v62, v62
	s_delay_alu instid0(VALU_DEP_1) | instskip(NEXT) | instid1(VALU_DEP_1)
	v_fmac_f32_e32 v63, v64, v64
	v_cmp_gt_f32_e32 vcc_lo, 0xf800000, v63
	v_mul_f32_e32 v62, 0x4f800000, v63
	s_wait_alu 0xfffd
	s_delay_alu instid0(VALU_DEP_1) | instskip(NEXT) | instid1(VALU_DEP_1)
	v_cndmask_b32_e32 v62, v63, v62, vcc_lo
	v_sqrt_f32_e32 v63, v62
	s_delay_alu instid0(TRANS32_DEP_1) | instskip(NEXT) | instid1(VALU_DEP_1)
	v_add_nc_u32_e32 v64, -1, v63
	v_fma_f32 v65, -v64, v63, v62
	s_delay_alu instid0(VALU_DEP_1) | instskip(SKIP_2) | instid1(VALU_DEP_2)
	v_cmp_ge_f32_e64 s0, 0, v65
	v_add_nc_u32_e32 v65, 1, v63
	s_wait_alu 0xf1ff
	v_cndmask_b32_e64 v64, v63, v64, s0
	s_delay_alu instid0(VALU_DEP_2) | instskip(NEXT) | instid1(VALU_DEP_1)
	v_fma_f32 v63, -v65, v63, v62
	v_cmp_lt_f32_e64 s0, 0, v63
	s_wait_alu 0xf1ff
	s_delay_alu instid0(VALU_DEP_1) | instskip(NEXT) | instid1(VALU_DEP_1)
	v_cndmask_b32_e64 v63, v64, v65, s0
	v_mul_f32_e32 v64, 0x37800000, v63
	s_delay_alu instid0(VALU_DEP_1) | instskip(SKIP_2) | instid1(VALU_DEP_2)
	v_cndmask_b32_e32 v63, v63, v64, vcc_lo
	v_cmp_class_f32_e64 vcc_lo, v62, 0x260
	s_wait_alu 0xfffd
	v_cndmask_b32_e32 v62, v63, v62, vcc_lo
	s_delay_alu instid0(VALU_DEP_1) | instskip(SKIP_1) | instid1(VALU_DEP_2)
	v_sub_f32_e32 v63, v62, v179
	v_fma_f32 v62, -v61, v62, 1.0
	v_cmp_gt_f32_e32 vcc_lo, 0, v63
	v_cmp_gt_f32_e64 s0, s29, v63
	s_wait_alu 0xfffd
	v_cndmask_b32_e64 v64, 0, 0x42980000, vcc_lo
	s_delay_alu instid0(VALU_DEP_1) | instskip(SKIP_4) | instid1(VALU_DEP_3)
	v_fmac_f32_e32 v120, v62, v64
	v_fma_f32 v62, -s31, v63, 1.0
	s_wait_alu 0xf1ff
	v_cndmask_b32_e64 v64, 0, 1.0, s0
	v_cmp_gt_f32_e64 s0, s28, v63
	v_cndmask_b32_e64 v62, v62, 1.0, vcc_lo
	s_and_b32 s0, s26, s0
	s_delay_alu instid0(VALU_DEP_1) | instskip(SKIP_1) | instid1(VALU_DEP_2)
	v_mul_f32_e32 v62, v64, v62
	v_sub_f32_e32 v64, v15, v178
	v_mul_f32_e32 v62, v134, v62
	s_delay_alu instid0(VALU_DEP_1) | instskip(NEXT) | instid1(VALU_DEP_1)
	v_cndmask_b32_e64 v62, v62, -|v62|, s27
	v_fmac_f32_e32 v120, 0x42340000, v62
	v_fma_f32 v62, -v132, v63, 1.0
	s_wait_alu 0xfffe
	v_cndmask_b32_e64 v63, 0, 1.0, s0
	s_delay_alu instid0(VALU_DEP_2) | instskip(NEXT) | instid1(VALU_DEP_2)
	v_cndmask_b32_e64 v62, v62, 1.0, vcc_lo
	v_mul_f32_e32 v63, s30, v63
	s_delay_alu instid0(VALU_DEP_1) | instskip(SKIP_1) | instid1(VALU_DEP_1)
	v_fmac_f32_e32 v120, v62, v63
	v_dual_sub_f32 v63, v14, v177 :: v_dual_sub_f32 v62, v13, v176
	v_mul_f32_e32 v63, v63, v63
	s_delay_alu instid0(VALU_DEP_1) | instskip(NEXT) | instid1(VALU_DEP_1)
	v_fmac_f32_e32 v63, v62, v62
	v_fmac_f32_e32 v63, v64, v64
	s_delay_alu instid0(VALU_DEP_1) | instskip(SKIP_2) | instid1(VALU_DEP_1)
	v_cmp_gt_f32_e32 vcc_lo, 0xf800000, v63
	v_mul_f32_e32 v62, 0x4f800000, v63
	s_wait_alu 0xfffd
	v_cndmask_b32_e32 v62, v63, v62, vcc_lo
	s_delay_alu instid0(VALU_DEP_1) | instskip(NEXT) | instid1(TRANS32_DEP_1)
	v_sqrt_f32_e32 v63, v62
	v_add_nc_u32_e32 v64, -1, v63
	s_delay_alu instid0(VALU_DEP_1) | instskip(NEXT) | instid1(VALU_DEP_1)
	v_fma_f32 v65, -v64, v63, v62
	v_cmp_ge_f32_e64 s0, 0, v65
	v_add_nc_u32_e32 v65, 1, v63
	s_wait_alu 0xf1ff
	s_delay_alu instid0(VALU_DEP_2) | instskip(NEXT) | instid1(VALU_DEP_2)
	v_cndmask_b32_e64 v64, v63, v64, s0
	v_fma_f32 v63, -v65, v63, v62
	s_delay_alu instid0(VALU_DEP_1) | instskip(SKIP_1) | instid1(VALU_DEP_1)
	v_cmp_lt_f32_e64 s0, 0, v63
	s_wait_alu 0xf1ff
	v_cndmask_b32_e64 v63, v64, v65, s0
	s_delay_alu instid0(VALU_DEP_1) | instskip(NEXT) | instid1(VALU_DEP_1)
	v_mul_f32_e32 v64, 0x37800000, v63
	v_cndmask_b32_e32 v63, v63, v64, vcc_lo
	v_cmp_class_f32_e64 vcc_lo, v62, 0x260
	s_wait_alu 0xfffd
	s_delay_alu instid0(VALU_DEP_2) | instskip(NEXT) | instid1(VALU_DEP_1)
	v_cndmask_b32_e32 v62, v63, v62, vcc_lo
	v_sub_f32_e32 v63, v62, v179
	v_fma_f32 v62, -v61, v62, 1.0
	s_delay_alu instid0(VALU_DEP_2) | instskip(SKIP_3) | instid1(VALU_DEP_1)
	v_cmp_gt_f32_e32 vcc_lo, 0, v63
	v_cmp_gt_f32_e64 s0, s29, v63
	s_wait_alu 0xfffd
	v_cndmask_b32_e64 v64, 0, 0x42980000, vcc_lo
	v_fmac_f32_e32 v121, v62, v64
	v_fma_f32 v62, -s31, v63, 1.0
	s_wait_alu 0xf1ff
	v_cndmask_b32_e64 v64, 0, 1.0, s0
	v_cmp_gt_f32_e64 s0, s28, v63
	s_delay_alu instid0(VALU_DEP_3) | instskip(SKIP_1) | instid1(VALU_DEP_1)
	v_cndmask_b32_e64 v62, v62, 1.0, vcc_lo
	s_and_b32 s0, s26, s0
	v_mul_f32_e32 v62, v64, v62
	v_sub_f32_e32 v64, v18, v178
	s_delay_alu instid0(VALU_DEP_2) | instskip(NEXT) | instid1(VALU_DEP_1)
	v_mul_f32_e32 v62, v134, v62
	v_cndmask_b32_e64 v62, v62, -|v62|, s27
	s_delay_alu instid0(VALU_DEP_1) | instskip(SKIP_3) | instid1(VALU_DEP_2)
	v_fmac_f32_e32 v121, 0x42340000, v62
	v_fma_f32 v62, -v132, v63, 1.0
	s_wait_alu 0xfffe
	v_cndmask_b32_e64 v63, 0, 1.0, s0
	v_cndmask_b32_e64 v62, v62, 1.0, vcc_lo
	s_delay_alu instid0(VALU_DEP_2) | instskip(NEXT) | instid1(VALU_DEP_1)
	v_mul_f32_e32 v63, s30, v63
	v_fmac_f32_e32 v121, v62, v63
	v_dual_sub_f32 v63, v17, v177 :: v_dual_sub_f32 v62, v16, v176
	s_delay_alu instid0(VALU_DEP_1) | instskip(NEXT) | instid1(VALU_DEP_1)
	v_mul_f32_e32 v63, v63, v63
	v_fmac_f32_e32 v63, v62, v62
	s_delay_alu instid0(VALU_DEP_1) | instskip(NEXT) | instid1(VALU_DEP_1)
	v_fmac_f32_e32 v63, v64, v64
	v_cmp_gt_f32_e32 vcc_lo, 0xf800000, v63
	v_mul_f32_e32 v62, 0x4f800000, v63
	s_wait_alu 0xfffd
	s_delay_alu instid0(VALU_DEP_1) | instskip(NEXT) | instid1(VALU_DEP_1)
	v_cndmask_b32_e32 v62, v63, v62, vcc_lo
	v_sqrt_f32_e32 v63, v62
	s_delay_alu instid0(TRANS32_DEP_1) | instskip(NEXT) | instid1(VALU_DEP_1)
	v_add_nc_u32_e32 v64, -1, v63
	v_fma_f32 v65, -v64, v63, v62
	s_delay_alu instid0(VALU_DEP_1) | instskip(SKIP_2) | instid1(VALU_DEP_2)
	v_cmp_ge_f32_e64 s0, 0, v65
	v_add_nc_u32_e32 v65, 1, v63
	s_wait_alu 0xf1ff
	v_cndmask_b32_e64 v64, v63, v64, s0
	s_delay_alu instid0(VALU_DEP_2) | instskip(NEXT) | instid1(VALU_DEP_1)
	v_fma_f32 v63, -v65, v63, v62
	v_cmp_lt_f32_e64 s0, 0, v63
	s_wait_alu 0xf1ff
	s_delay_alu instid0(VALU_DEP_1) | instskip(NEXT) | instid1(VALU_DEP_1)
	v_cndmask_b32_e64 v63, v64, v65, s0
	v_mul_f32_e32 v64, 0x37800000, v63
	s_delay_alu instid0(VALU_DEP_1) | instskip(SKIP_2) | instid1(VALU_DEP_2)
	v_cndmask_b32_e32 v63, v63, v64, vcc_lo
	v_cmp_class_f32_e64 vcc_lo, v62, 0x260
	s_wait_alu 0xfffd
	v_cndmask_b32_e32 v62, v63, v62, vcc_lo
	s_delay_alu instid0(VALU_DEP_1) | instskip(SKIP_1) | instid1(VALU_DEP_2)
	v_sub_f32_e32 v63, v62, v179
	v_fma_f32 v62, -v61, v62, 1.0
	v_cmp_gt_f32_e32 vcc_lo, 0, v63
	v_cmp_gt_f32_e64 s0, s29, v63
	s_wait_alu 0xfffd
	v_cndmask_b32_e64 v64, 0, 0x42980000, vcc_lo
	s_delay_alu instid0(VALU_DEP_1) | instskip(SKIP_3) | instid1(VALU_DEP_2)
	v_fmac_f32_e32 v122, v62, v64
	v_fma_f32 v62, -s31, v63, 1.0
	s_wait_alu 0xf1ff
	v_cndmask_b32_e64 v64, 0, 1.0, s0
	v_cndmask_b32_e64 v62, v62, 1.0, vcc_lo
	s_delay_alu instid0(VALU_DEP_1) | instskip(SKIP_2) | instid1(VALU_DEP_3)
	v_mul_f32_e32 v62, v64, v62
	v_cmp_gt_f32_e64 s0, s28, v63
	v_sub_f32_e32 v64, v21, v178
	v_mul_f32_e32 v62, v134, v62
	s_and_b32 s0, s26, s0
	s_delay_alu instid0(VALU_DEP_1) | instskip(NEXT) | instid1(VALU_DEP_1)
	v_cndmask_b32_e64 v62, v62, -|v62|, s27
	v_fmac_f32_e32 v122, 0x42340000, v62
	v_fma_f32 v62, -v132, v63, 1.0
	s_wait_alu 0xfffe
	v_cndmask_b32_e64 v63, 0, 1.0, s0
	s_delay_alu instid0(VALU_DEP_2) | instskip(NEXT) | instid1(VALU_DEP_2)
	v_cndmask_b32_e64 v62, v62, 1.0, vcc_lo
	v_mul_f32_e32 v63, s30, v63
	s_delay_alu instid0(VALU_DEP_1) | instskip(SKIP_1) | instid1(VALU_DEP_2)
	v_dual_fmac_f32 v122, v62, v63 :: v_dual_sub_f32 v63, v20, v177
	v_sub_f32_e32 v62, v19, v176
	v_mul_f32_e32 v63, v63, v63
	s_delay_alu instid0(VALU_DEP_1) | instskip(NEXT) | instid1(VALU_DEP_1)
	v_fmac_f32_e32 v63, v62, v62
	v_fmac_f32_e32 v63, v64, v64
	s_delay_alu instid0(VALU_DEP_1) | instskip(SKIP_2) | instid1(VALU_DEP_1)
	v_cmp_gt_f32_e32 vcc_lo, 0xf800000, v63
	v_mul_f32_e32 v62, 0x4f800000, v63
	s_wait_alu 0xfffd
	v_cndmask_b32_e32 v62, v63, v62, vcc_lo
	s_delay_alu instid0(VALU_DEP_1) | instskip(NEXT) | instid1(TRANS32_DEP_1)
	v_sqrt_f32_e32 v63, v62
	v_add_nc_u32_e32 v64, -1, v63
	s_delay_alu instid0(VALU_DEP_1) | instskip(NEXT) | instid1(VALU_DEP_1)
	v_fma_f32 v65, -v64, v63, v62
	v_cmp_ge_f32_e64 s0, 0, v65
	v_add_nc_u32_e32 v65, 1, v63
	s_wait_alu 0xf1ff
	s_delay_alu instid0(VALU_DEP_2) | instskip(NEXT) | instid1(VALU_DEP_2)
	v_cndmask_b32_e64 v64, v63, v64, s0
	v_fma_f32 v63, -v65, v63, v62
	s_delay_alu instid0(VALU_DEP_1) | instskip(SKIP_1) | instid1(VALU_DEP_1)
	v_cmp_lt_f32_e64 s0, 0, v63
	s_wait_alu 0xf1ff
	v_cndmask_b32_e64 v63, v64, v65, s0
	s_delay_alu instid0(VALU_DEP_1) | instskip(NEXT) | instid1(VALU_DEP_1)
	v_mul_f32_e32 v64, 0x37800000, v63
	v_cndmask_b32_e32 v63, v63, v64, vcc_lo
	v_cmp_class_f32_e64 vcc_lo, v62, 0x260
	s_wait_alu 0xfffd
	s_delay_alu instid0(VALU_DEP_2) | instskip(NEXT) | instid1(VALU_DEP_1)
	v_cndmask_b32_e32 v62, v63, v62, vcc_lo
	v_sub_f32_e32 v63, v62, v179
	v_fma_f32 v62, -v61, v62, 1.0
	s_delay_alu instid0(VALU_DEP_2) | instskip(SKIP_3) | instid1(VALU_DEP_1)
	v_cmp_gt_f32_e32 vcc_lo, 0, v63
	v_cmp_gt_f32_e64 s0, s29, v63
	s_wait_alu 0xfffd
	v_cndmask_b32_e64 v64, 0, 0x42980000, vcc_lo
	v_fmac_f32_e32 v123, v62, v64
	v_fma_f32 v62, -s31, v63, 1.0
	s_wait_alu 0xf1ff
	v_cndmask_b32_e64 v64, 0, 1.0, s0
	v_cmp_gt_f32_e64 s0, s28, v63
	s_delay_alu instid0(VALU_DEP_3) | instskip(SKIP_1) | instid1(VALU_DEP_1)
	v_cndmask_b32_e64 v62, v62, 1.0, vcc_lo
	s_and_b32 s0, s26, s0
	v_mul_f32_e32 v62, v64, v62
	v_sub_f32_e32 v64, v24, v178
	s_delay_alu instid0(VALU_DEP_2) | instskip(NEXT) | instid1(VALU_DEP_1)
	v_mul_f32_e32 v62, v134, v62
	v_cndmask_b32_e64 v62, v62, -|v62|, s27
	s_delay_alu instid0(VALU_DEP_1) | instskip(SKIP_3) | instid1(VALU_DEP_2)
	v_fmac_f32_e32 v123, 0x42340000, v62
	v_fma_f32 v62, -v132, v63, 1.0
	s_wait_alu 0xfffe
	v_cndmask_b32_e64 v63, 0, 1.0, s0
	v_cndmask_b32_e64 v62, v62, 1.0, vcc_lo
	s_delay_alu instid0(VALU_DEP_2) | instskip(NEXT) | instid1(VALU_DEP_1)
	v_mul_f32_e32 v63, s30, v63
	v_fmac_f32_e32 v123, v62, v63
	v_dual_sub_f32 v63, v23, v177 :: v_dual_sub_f32 v62, v22, v176
	s_delay_alu instid0(VALU_DEP_1) | instskip(NEXT) | instid1(VALU_DEP_1)
	v_mul_f32_e32 v63, v63, v63
	v_fmac_f32_e32 v63, v62, v62
	s_delay_alu instid0(VALU_DEP_1) | instskip(NEXT) | instid1(VALU_DEP_1)
	v_fmac_f32_e32 v63, v64, v64
	v_cmp_gt_f32_e32 vcc_lo, 0xf800000, v63
	v_mul_f32_e32 v62, 0x4f800000, v63
	s_wait_alu 0xfffd
	s_delay_alu instid0(VALU_DEP_1) | instskip(NEXT) | instid1(VALU_DEP_1)
	v_cndmask_b32_e32 v62, v63, v62, vcc_lo
	v_sqrt_f32_e32 v63, v62
	s_delay_alu instid0(TRANS32_DEP_1) | instskip(NEXT) | instid1(VALU_DEP_1)
	v_add_nc_u32_e32 v64, -1, v63
	v_fma_f32 v65, -v64, v63, v62
	s_delay_alu instid0(VALU_DEP_1) | instskip(SKIP_2) | instid1(VALU_DEP_2)
	v_cmp_ge_f32_e64 s0, 0, v65
	v_add_nc_u32_e32 v65, 1, v63
	s_wait_alu 0xf1ff
	v_cndmask_b32_e64 v64, v63, v64, s0
	s_delay_alu instid0(VALU_DEP_2) | instskip(NEXT) | instid1(VALU_DEP_1)
	v_fma_f32 v63, -v65, v63, v62
	v_cmp_lt_f32_e64 s0, 0, v63
	s_wait_alu 0xf1ff
	s_delay_alu instid0(VALU_DEP_1) | instskip(NEXT) | instid1(VALU_DEP_1)
	v_cndmask_b32_e64 v63, v64, v65, s0
	v_mul_f32_e32 v64, 0x37800000, v63
	s_delay_alu instid0(VALU_DEP_1) | instskip(SKIP_2) | instid1(VALU_DEP_2)
	v_cndmask_b32_e32 v63, v63, v64, vcc_lo
	v_cmp_class_f32_e64 vcc_lo, v62, 0x260
	s_wait_alu 0xfffd
	v_cndmask_b32_e32 v62, v63, v62, vcc_lo
	s_delay_alu instid0(VALU_DEP_1) | instskip(SKIP_1) | instid1(VALU_DEP_2)
	v_sub_f32_e32 v63, v62, v179
	v_fma_f32 v62, -v61, v62, 1.0
	v_cmp_gt_f32_e32 vcc_lo, 0, v63
	v_cmp_gt_f32_e64 s0, s29, v63
	s_wait_alu 0xfffd
	v_cndmask_b32_e64 v64, 0, 0x42980000, vcc_lo
	s_delay_alu instid0(VALU_DEP_1) | instskip(SKIP_4) | instid1(VALU_DEP_3)
	v_fmac_f32_e32 v116, v62, v64
	v_fma_f32 v62, -s31, v63, 1.0
	s_wait_alu 0xf1ff
	v_cndmask_b32_e64 v64, 0, 1.0, s0
	v_cmp_gt_f32_e64 s0, s28, v63
	v_cndmask_b32_e64 v62, v62, 1.0, vcc_lo
	s_and_b32 s0, s26, s0
	s_delay_alu instid0(VALU_DEP_1) | instskip(SKIP_1) | instid1(VALU_DEP_2)
	v_mul_f32_e32 v62, v64, v62
	v_sub_f32_e32 v64, v27, v178
	v_mul_f32_e32 v62, v134, v62
	s_delay_alu instid0(VALU_DEP_1) | instskip(NEXT) | instid1(VALU_DEP_1)
	v_cndmask_b32_e64 v62, v62, -|v62|, s27
	v_fmac_f32_e32 v116, 0x42340000, v62
	v_fma_f32 v62, -v132, v63, 1.0
	s_wait_alu 0xfffe
	v_cndmask_b32_e64 v63, 0, 1.0, s0
	s_delay_alu instid0(VALU_DEP_2) | instskip(NEXT) | instid1(VALU_DEP_2)
	v_cndmask_b32_e64 v62, v62, 1.0, vcc_lo
	v_mul_f32_e32 v63, s30, v63
	s_delay_alu instid0(VALU_DEP_1) | instskip(SKIP_1) | instid1(VALU_DEP_1)
	v_fmac_f32_e32 v116, v62, v63
	v_dual_sub_f32 v63, v26, v177 :: v_dual_sub_f32 v62, v25, v176
	v_mul_f32_e32 v63, v63, v63
	s_delay_alu instid0(VALU_DEP_1) | instskip(NEXT) | instid1(VALU_DEP_1)
	v_fmac_f32_e32 v63, v62, v62
	v_fmac_f32_e32 v63, v64, v64
	s_delay_alu instid0(VALU_DEP_1) | instskip(SKIP_2) | instid1(VALU_DEP_1)
	v_cmp_gt_f32_e32 vcc_lo, 0xf800000, v63
	v_mul_f32_e32 v62, 0x4f800000, v63
	s_wait_alu 0xfffd
	v_cndmask_b32_e32 v62, v63, v62, vcc_lo
	s_delay_alu instid0(VALU_DEP_1) | instskip(NEXT) | instid1(TRANS32_DEP_1)
	v_sqrt_f32_e32 v63, v62
	v_add_nc_u32_e32 v64, -1, v63
	s_delay_alu instid0(VALU_DEP_1) | instskip(NEXT) | instid1(VALU_DEP_1)
	v_fma_f32 v65, -v64, v63, v62
	v_cmp_ge_f32_e64 s0, 0, v65
	v_add_nc_u32_e32 v65, 1, v63
	s_wait_alu 0xf1ff
	s_delay_alu instid0(VALU_DEP_2) | instskip(NEXT) | instid1(VALU_DEP_2)
	v_cndmask_b32_e64 v64, v63, v64, s0
	v_fma_f32 v63, -v65, v63, v62
	s_delay_alu instid0(VALU_DEP_1) | instskip(SKIP_1) | instid1(VALU_DEP_1)
	v_cmp_lt_f32_e64 s0, 0, v63
	s_wait_alu 0xf1ff
	v_cndmask_b32_e64 v63, v64, v65, s0
	s_delay_alu instid0(VALU_DEP_1) | instskip(NEXT) | instid1(VALU_DEP_1)
	v_mul_f32_e32 v64, 0x37800000, v63
	v_cndmask_b32_e32 v63, v63, v64, vcc_lo
	v_cmp_class_f32_e64 vcc_lo, v62, 0x260
	s_wait_alu 0xfffd
	s_delay_alu instid0(VALU_DEP_2) | instskip(NEXT) | instid1(VALU_DEP_1)
	v_cndmask_b32_e32 v62, v63, v62, vcc_lo
	v_sub_f32_e32 v63, v62, v179
	v_fma_f32 v62, -v61, v62, 1.0
	s_delay_alu instid0(VALU_DEP_2) | instskip(SKIP_3) | instid1(VALU_DEP_1)
	v_cmp_gt_f32_e32 vcc_lo, 0, v63
	v_cmp_gt_f32_e64 s0, s29, v63
	s_wait_alu 0xfffd
	v_cndmask_b32_e64 v64, 0, 0x42980000, vcc_lo
	v_fmac_f32_e32 v117, v62, v64
	v_fma_f32 v62, -s31, v63, 1.0
	s_wait_alu 0xf1ff
	v_cndmask_b32_e64 v64, 0, 1.0, s0
	v_cmp_gt_f32_e64 s0, s28, v63
	s_delay_alu instid0(VALU_DEP_3) | instskip(SKIP_1) | instid1(VALU_DEP_1)
	v_cndmask_b32_e64 v62, v62, 1.0, vcc_lo
	s_and_b32 s0, s26, s0
	v_mul_f32_e32 v62, v64, v62
	v_sub_f32_e32 v64, v30, v178
	s_delay_alu instid0(VALU_DEP_2) | instskip(NEXT) | instid1(VALU_DEP_1)
	v_mul_f32_e32 v62, v134, v62
	v_cndmask_b32_e64 v62, v62, -|v62|, s27
	s_delay_alu instid0(VALU_DEP_1) | instskip(SKIP_3) | instid1(VALU_DEP_2)
	v_fmac_f32_e32 v117, 0x42340000, v62
	v_fma_f32 v62, -v132, v63, 1.0
	s_wait_alu 0xfffe
	v_cndmask_b32_e64 v63, 0, 1.0, s0
	v_cndmask_b32_e64 v62, v62, 1.0, vcc_lo
	s_delay_alu instid0(VALU_DEP_2) | instskip(NEXT) | instid1(VALU_DEP_1)
	v_mul_f32_e32 v63, s30, v63
	v_fmac_f32_e32 v117, v62, v63
	v_dual_sub_f32 v63, v29, v177 :: v_dual_sub_f32 v62, v28, v176
	s_delay_alu instid0(VALU_DEP_1) | instskip(NEXT) | instid1(VALU_DEP_1)
	v_mul_f32_e32 v63, v63, v63
	v_fmac_f32_e32 v63, v62, v62
	s_delay_alu instid0(VALU_DEP_1) | instskip(NEXT) | instid1(VALU_DEP_1)
	v_fmac_f32_e32 v63, v64, v64
	v_cmp_gt_f32_e32 vcc_lo, 0xf800000, v63
	v_mul_f32_e32 v62, 0x4f800000, v63
	s_wait_alu 0xfffd
	s_delay_alu instid0(VALU_DEP_1) | instskip(NEXT) | instid1(VALU_DEP_1)
	v_cndmask_b32_e32 v62, v63, v62, vcc_lo
	v_sqrt_f32_e32 v63, v62
	s_delay_alu instid0(TRANS32_DEP_1) | instskip(NEXT) | instid1(VALU_DEP_1)
	v_add_nc_u32_e32 v64, -1, v63
	v_fma_f32 v65, -v64, v63, v62
	s_delay_alu instid0(VALU_DEP_1) | instskip(SKIP_2) | instid1(VALU_DEP_2)
	v_cmp_ge_f32_e64 s0, 0, v65
	v_add_nc_u32_e32 v65, 1, v63
	s_wait_alu 0xf1ff
	v_cndmask_b32_e64 v64, v63, v64, s0
	s_delay_alu instid0(VALU_DEP_2) | instskip(NEXT) | instid1(VALU_DEP_1)
	v_fma_f32 v63, -v65, v63, v62
	v_cmp_lt_f32_e64 s0, 0, v63
	s_wait_alu 0xf1ff
	s_delay_alu instid0(VALU_DEP_1) | instskip(NEXT) | instid1(VALU_DEP_1)
	v_cndmask_b32_e64 v63, v64, v65, s0
	v_mul_f32_e32 v64, 0x37800000, v63
	s_delay_alu instid0(VALU_DEP_1) | instskip(SKIP_2) | instid1(VALU_DEP_2)
	v_cndmask_b32_e32 v63, v63, v64, vcc_lo
	v_cmp_class_f32_e64 vcc_lo, v62, 0x260
	s_wait_alu 0xfffd
	v_cndmask_b32_e32 v62, v63, v62, vcc_lo
	s_delay_alu instid0(VALU_DEP_1) | instskip(SKIP_1) | instid1(VALU_DEP_2)
	v_sub_f32_e32 v63, v62, v179
	v_fma_f32 v62, -v61, v62, 1.0
	v_cmp_gt_f32_e32 vcc_lo, 0, v63
	v_cmp_gt_f32_e64 s0, s29, v63
	s_wait_alu 0xfffd
	v_cndmask_b32_e64 v64, 0, 0x42980000, vcc_lo
	s_delay_alu instid0(VALU_DEP_1) | instskip(SKIP_3) | instid1(VALU_DEP_2)
	v_fmac_f32_e32 v118, v62, v64
	v_fma_f32 v62, -s31, v63, 1.0
	s_wait_alu 0xf1ff
	v_cndmask_b32_e64 v64, 0, 1.0, s0
	v_cndmask_b32_e64 v62, v62, 1.0, vcc_lo
	s_delay_alu instid0(VALU_DEP_1) | instskip(SKIP_2) | instid1(VALU_DEP_3)
	v_mul_f32_e32 v62, v64, v62
	v_cmp_gt_f32_e64 s0, s28, v63
	v_sub_f32_e32 v64, v33, v178
	v_mul_f32_e32 v62, v134, v62
	s_and_b32 s0, s26, s0
	s_delay_alu instid0(VALU_DEP_1) | instskip(NEXT) | instid1(VALU_DEP_1)
	v_cndmask_b32_e64 v62, v62, -|v62|, s27
	v_fmac_f32_e32 v118, 0x42340000, v62
	v_fma_f32 v62, -v132, v63, 1.0
	s_wait_alu 0xfffe
	v_cndmask_b32_e64 v63, 0, 1.0, s0
	s_delay_alu instid0(VALU_DEP_2) | instskip(NEXT) | instid1(VALU_DEP_2)
	v_cndmask_b32_e64 v62, v62, 1.0, vcc_lo
	v_mul_f32_e32 v63, s30, v63
	s_delay_alu instid0(VALU_DEP_1) | instskip(SKIP_1) | instid1(VALU_DEP_2)
	v_dual_fmac_f32 v118, v62, v63 :: v_dual_sub_f32 v63, v32, v177
	v_sub_f32_e32 v62, v31, v176
	v_mul_f32_e32 v63, v63, v63
	s_delay_alu instid0(VALU_DEP_1) | instskip(NEXT) | instid1(VALU_DEP_1)
	v_fmac_f32_e32 v63, v62, v62
	v_fmac_f32_e32 v63, v64, v64
	s_delay_alu instid0(VALU_DEP_1) | instskip(SKIP_2) | instid1(VALU_DEP_1)
	v_cmp_gt_f32_e32 vcc_lo, 0xf800000, v63
	v_mul_f32_e32 v62, 0x4f800000, v63
	s_wait_alu 0xfffd
	v_cndmask_b32_e32 v62, v63, v62, vcc_lo
	s_delay_alu instid0(VALU_DEP_1) | instskip(NEXT) | instid1(TRANS32_DEP_1)
	v_sqrt_f32_e32 v63, v62
	v_add_nc_u32_e32 v64, -1, v63
	s_delay_alu instid0(VALU_DEP_1) | instskip(NEXT) | instid1(VALU_DEP_1)
	v_fma_f32 v65, -v64, v63, v62
	v_cmp_ge_f32_e64 s0, 0, v65
	v_add_nc_u32_e32 v65, 1, v63
	s_wait_alu 0xf1ff
	s_delay_alu instid0(VALU_DEP_2) | instskip(NEXT) | instid1(VALU_DEP_2)
	v_cndmask_b32_e64 v64, v63, v64, s0
	v_fma_f32 v63, -v65, v63, v62
	s_delay_alu instid0(VALU_DEP_1) | instskip(SKIP_1) | instid1(VALU_DEP_1)
	v_cmp_lt_f32_e64 s0, 0, v63
	s_wait_alu 0xf1ff
	v_cndmask_b32_e64 v63, v64, v65, s0
	s_delay_alu instid0(VALU_DEP_1) | instskip(NEXT) | instid1(VALU_DEP_1)
	v_mul_f32_e32 v64, 0x37800000, v63
	v_cndmask_b32_e32 v63, v63, v64, vcc_lo
	v_cmp_class_f32_e64 vcc_lo, v62, 0x260
	s_wait_alu 0xfffd
	s_delay_alu instid0(VALU_DEP_2) | instskip(NEXT) | instid1(VALU_DEP_1)
	v_cndmask_b32_e32 v62, v63, v62, vcc_lo
	v_sub_f32_e32 v63, v62, v179
	v_fma_f32 v62, -v61, v62, 1.0
	s_delay_alu instid0(VALU_DEP_2) | instskip(SKIP_3) | instid1(VALU_DEP_1)
	v_cmp_gt_f32_e32 vcc_lo, 0, v63
	v_cmp_gt_f32_e64 s0, s29, v63
	s_wait_alu 0xfffd
	v_cndmask_b32_e64 v64, 0, 0x42980000, vcc_lo
	v_fmac_f32_e32 v119, v62, v64
	v_fma_f32 v62, -s31, v63, 1.0
	s_wait_alu 0xf1ff
	v_cndmask_b32_e64 v64, 0, 1.0, s0
	v_cmp_gt_f32_e64 s0, s28, v63
	s_delay_alu instid0(VALU_DEP_3) | instskip(SKIP_1) | instid1(VALU_DEP_1)
	v_cndmask_b32_e64 v62, v62, 1.0, vcc_lo
	s_and_b32 s0, s26, s0
	v_mul_f32_e32 v62, v64, v62
	v_sub_f32_e32 v64, v36, v178
	s_delay_alu instid0(VALU_DEP_2) | instskip(NEXT) | instid1(VALU_DEP_1)
	v_mul_f32_e32 v62, v134, v62
	v_cndmask_b32_e64 v62, v62, -|v62|, s27
	s_delay_alu instid0(VALU_DEP_1) | instskip(SKIP_3) | instid1(VALU_DEP_2)
	v_fmac_f32_e32 v119, 0x42340000, v62
	v_fma_f32 v62, -v132, v63, 1.0
	s_wait_alu 0xfffe
	v_cndmask_b32_e64 v63, 0, 1.0, s0
	v_cndmask_b32_e64 v62, v62, 1.0, vcc_lo
	s_delay_alu instid0(VALU_DEP_2) | instskip(NEXT) | instid1(VALU_DEP_1)
	v_mul_f32_e32 v63, s30, v63
	v_fmac_f32_e32 v119, v62, v63
	v_dual_sub_f32 v63, v35, v177 :: v_dual_sub_f32 v62, v34, v176
	s_delay_alu instid0(VALU_DEP_1) | instskip(NEXT) | instid1(VALU_DEP_1)
	v_mul_f32_e32 v63, v63, v63
	v_fmac_f32_e32 v63, v62, v62
	s_delay_alu instid0(VALU_DEP_1) | instskip(NEXT) | instid1(VALU_DEP_1)
	v_fmac_f32_e32 v63, v64, v64
	v_cmp_gt_f32_e32 vcc_lo, 0xf800000, v63
	v_mul_f32_e32 v62, 0x4f800000, v63
	s_wait_alu 0xfffd
	s_delay_alu instid0(VALU_DEP_1) | instskip(NEXT) | instid1(VALU_DEP_1)
	v_cndmask_b32_e32 v62, v63, v62, vcc_lo
	v_sqrt_f32_e32 v63, v62
	s_delay_alu instid0(TRANS32_DEP_1) | instskip(NEXT) | instid1(VALU_DEP_1)
	v_add_nc_u32_e32 v64, -1, v63
	v_fma_f32 v65, -v64, v63, v62
	s_delay_alu instid0(VALU_DEP_1) | instskip(SKIP_2) | instid1(VALU_DEP_2)
	v_cmp_ge_f32_e64 s0, 0, v65
	v_add_nc_u32_e32 v65, 1, v63
	s_wait_alu 0xf1ff
	v_cndmask_b32_e64 v64, v63, v64, s0
	s_delay_alu instid0(VALU_DEP_2) | instskip(NEXT) | instid1(VALU_DEP_1)
	v_fma_f32 v63, -v65, v63, v62
	v_cmp_lt_f32_e64 s0, 0, v63
	s_wait_alu 0xf1ff
	s_delay_alu instid0(VALU_DEP_1) | instskip(NEXT) | instid1(VALU_DEP_1)
	v_cndmask_b32_e64 v63, v64, v65, s0
	v_mul_f32_e32 v64, 0x37800000, v63
	s_delay_alu instid0(VALU_DEP_1) | instskip(SKIP_2) | instid1(VALU_DEP_2)
	v_cndmask_b32_e32 v63, v63, v64, vcc_lo
	v_cmp_class_f32_e64 vcc_lo, v62, 0x260
	s_wait_alu 0xfffd
	v_cndmask_b32_e32 v62, v63, v62, vcc_lo
	s_delay_alu instid0(VALU_DEP_1) | instskip(SKIP_1) | instid1(VALU_DEP_2)
	v_sub_f32_e32 v63, v62, v179
	v_fma_f32 v62, -v61, v62, 1.0
	v_cmp_gt_f32_e32 vcc_lo, 0, v63
	v_cmp_gt_f32_e64 s0, s29, v63
	s_wait_alu 0xfffd
	v_cndmask_b32_e64 v64, 0, 0x42980000, vcc_lo
	s_delay_alu instid0(VALU_DEP_1) | instskip(SKIP_4) | instid1(VALU_DEP_3)
	v_fmac_f32_e32 v112, v62, v64
	v_fma_f32 v62, -s31, v63, 1.0
	s_wait_alu 0xf1ff
	v_cndmask_b32_e64 v64, 0, 1.0, s0
	v_cmp_gt_f32_e64 s0, s28, v63
	v_cndmask_b32_e64 v62, v62, 1.0, vcc_lo
	s_and_b32 s0, s26, s0
	s_delay_alu instid0(VALU_DEP_1) | instskip(SKIP_1) | instid1(VALU_DEP_2)
	v_mul_f32_e32 v62, v64, v62
	v_sub_f32_e32 v64, v39, v178
	v_mul_f32_e32 v62, v134, v62
	s_delay_alu instid0(VALU_DEP_1) | instskip(NEXT) | instid1(VALU_DEP_1)
	v_cndmask_b32_e64 v62, v62, -|v62|, s27
	v_fmac_f32_e32 v112, 0x42340000, v62
	v_fma_f32 v62, -v132, v63, 1.0
	s_wait_alu 0xfffe
	v_cndmask_b32_e64 v63, 0, 1.0, s0
	s_delay_alu instid0(VALU_DEP_2) | instskip(NEXT) | instid1(VALU_DEP_2)
	v_cndmask_b32_e64 v62, v62, 1.0, vcc_lo
	v_mul_f32_e32 v63, s30, v63
	s_delay_alu instid0(VALU_DEP_1) | instskip(SKIP_1) | instid1(VALU_DEP_1)
	v_fmac_f32_e32 v112, v62, v63
	v_dual_sub_f32 v63, v38, v177 :: v_dual_sub_f32 v62, v37, v176
	v_mul_f32_e32 v63, v63, v63
	s_delay_alu instid0(VALU_DEP_1) | instskip(NEXT) | instid1(VALU_DEP_1)
	v_fmac_f32_e32 v63, v62, v62
	v_fmac_f32_e32 v63, v64, v64
	s_delay_alu instid0(VALU_DEP_1) | instskip(SKIP_2) | instid1(VALU_DEP_1)
	v_cmp_gt_f32_e32 vcc_lo, 0xf800000, v63
	v_mul_f32_e32 v62, 0x4f800000, v63
	s_wait_alu 0xfffd
	v_cndmask_b32_e32 v62, v63, v62, vcc_lo
	s_delay_alu instid0(VALU_DEP_1) | instskip(NEXT) | instid1(TRANS32_DEP_1)
	v_sqrt_f32_e32 v63, v62
	v_add_nc_u32_e32 v64, -1, v63
	s_delay_alu instid0(VALU_DEP_1) | instskip(NEXT) | instid1(VALU_DEP_1)
	v_fma_f32 v65, -v64, v63, v62
	v_cmp_ge_f32_e64 s0, 0, v65
	v_add_nc_u32_e32 v65, 1, v63
	s_wait_alu 0xf1ff
	s_delay_alu instid0(VALU_DEP_2) | instskip(NEXT) | instid1(VALU_DEP_2)
	v_cndmask_b32_e64 v64, v63, v64, s0
	v_fma_f32 v63, -v65, v63, v62
	s_delay_alu instid0(VALU_DEP_1) | instskip(SKIP_1) | instid1(VALU_DEP_1)
	v_cmp_lt_f32_e64 s0, 0, v63
	s_wait_alu 0xf1ff
	v_cndmask_b32_e64 v63, v64, v65, s0
	s_delay_alu instid0(VALU_DEP_1) | instskip(NEXT) | instid1(VALU_DEP_1)
	v_mul_f32_e32 v64, 0x37800000, v63
	v_cndmask_b32_e32 v63, v63, v64, vcc_lo
	v_cmp_class_f32_e64 vcc_lo, v62, 0x260
	s_wait_alu 0xfffd
	s_delay_alu instid0(VALU_DEP_2) | instskip(NEXT) | instid1(VALU_DEP_1)
	v_cndmask_b32_e32 v62, v63, v62, vcc_lo
	v_sub_f32_e32 v63, v62, v179
	v_fma_f32 v62, -v61, v62, 1.0
	s_delay_alu instid0(VALU_DEP_2) | instskip(SKIP_3) | instid1(VALU_DEP_1)
	v_cmp_gt_f32_e32 vcc_lo, 0, v63
	v_cmp_gt_f32_e64 s0, s29, v63
	s_wait_alu 0xfffd
	v_cndmask_b32_e64 v64, 0, 0x42980000, vcc_lo
	v_fmac_f32_e32 v113, v62, v64
	v_fma_f32 v62, -s31, v63, 1.0
	s_wait_alu 0xf1ff
	v_cndmask_b32_e64 v64, 0, 1.0, s0
	v_cmp_gt_f32_e64 s0, s28, v63
	s_delay_alu instid0(VALU_DEP_3) | instskip(SKIP_1) | instid1(VALU_DEP_1)
	v_cndmask_b32_e64 v62, v62, 1.0, vcc_lo
	s_and_b32 s0, s26, s0
	v_mul_f32_e32 v62, v64, v62
	v_sub_f32_e32 v64, v42, v178
	s_delay_alu instid0(VALU_DEP_2) | instskip(NEXT) | instid1(VALU_DEP_1)
	v_mul_f32_e32 v62, v134, v62
	v_cndmask_b32_e64 v62, v62, -|v62|, s27
	s_delay_alu instid0(VALU_DEP_1) | instskip(SKIP_3) | instid1(VALU_DEP_2)
	v_fmac_f32_e32 v113, 0x42340000, v62
	v_fma_f32 v62, -v132, v63, 1.0
	s_wait_alu 0xfffe
	v_cndmask_b32_e64 v63, 0, 1.0, s0
	v_cndmask_b32_e64 v62, v62, 1.0, vcc_lo
	s_delay_alu instid0(VALU_DEP_2) | instskip(NEXT) | instid1(VALU_DEP_1)
	v_mul_f32_e32 v63, s30, v63
	v_fmac_f32_e32 v113, v62, v63
	v_dual_sub_f32 v63, v41, v177 :: v_dual_sub_f32 v62, v40, v176
	s_delay_alu instid0(VALU_DEP_1) | instskip(NEXT) | instid1(VALU_DEP_1)
	v_mul_f32_e32 v63, v63, v63
	v_fmac_f32_e32 v63, v62, v62
	s_delay_alu instid0(VALU_DEP_1) | instskip(NEXT) | instid1(VALU_DEP_1)
	v_fmac_f32_e32 v63, v64, v64
	v_cmp_gt_f32_e32 vcc_lo, 0xf800000, v63
	v_mul_f32_e32 v62, 0x4f800000, v63
	s_wait_alu 0xfffd
	s_delay_alu instid0(VALU_DEP_1) | instskip(NEXT) | instid1(VALU_DEP_1)
	v_cndmask_b32_e32 v62, v63, v62, vcc_lo
	v_sqrt_f32_e32 v63, v62
	s_delay_alu instid0(TRANS32_DEP_1) | instskip(NEXT) | instid1(VALU_DEP_1)
	v_add_nc_u32_e32 v64, -1, v63
	v_fma_f32 v65, -v64, v63, v62
	s_delay_alu instid0(VALU_DEP_1) | instskip(SKIP_2) | instid1(VALU_DEP_2)
	v_cmp_ge_f32_e64 s0, 0, v65
	v_add_nc_u32_e32 v65, 1, v63
	s_wait_alu 0xf1ff
	v_cndmask_b32_e64 v64, v63, v64, s0
	s_delay_alu instid0(VALU_DEP_2) | instskip(NEXT) | instid1(VALU_DEP_1)
	v_fma_f32 v63, -v65, v63, v62
	v_cmp_lt_f32_e64 s0, 0, v63
	s_wait_alu 0xf1ff
	s_delay_alu instid0(VALU_DEP_1) | instskip(NEXT) | instid1(VALU_DEP_1)
	v_cndmask_b32_e64 v63, v64, v65, s0
	v_mul_f32_e32 v64, 0x37800000, v63
	s_delay_alu instid0(VALU_DEP_1) | instskip(SKIP_2) | instid1(VALU_DEP_2)
	v_cndmask_b32_e32 v63, v63, v64, vcc_lo
	v_cmp_class_f32_e64 vcc_lo, v62, 0x260
	s_wait_alu 0xfffd
	v_cndmask_b32_e32 v62, v63, v62, vcc_lo
	s_delay_alu instid0(VALU_DEP_1) | instskip(SKIP_1) | instid1(VALU_DEP_2)
	v_sub_f32_e32 v63, v62, v179
	v_fma_f32 v62, -v61, v62, 1.0
	v_cmp_gt_f32_e32 vcc_lo, 0, v63
	v_cmp_gt_f32_e64 s0, s29, v63
	s_wait_alu 0xfffd
	v_cndmask_b32_e64 v64, 0, 0x42980000, vcc_lo
	s_delay_alu instid0(VALU_DEP_1) | instskip(SKIP_3) | instid1(VALU_DEP_2)
	v_fmac_f32_e32 v114, v62, v64
	v_fma_f32 v62, -s31, v63, 1.0
	s_wait_alu 0xf1ff
	v_cndmask_b32_e64 v64, 0, 1.0, s0
	v_cndmask_b32_e64 v62, v62, 1.0, vcc_lo
	s_delay_alu instid0(VALU_DEP_1) | instskip(SKIP_2) | instid1(VALU_DEP_3)
	v_mul_f32_e32 v62, v64, v62
	v_cmp_gt_f32_e64 s0, s28, v63
	v_sub_f32_e32 v64, v45, v178
	v_mul_f32_e32 v62, v134, v62
	s_and_b32 s0, s26, s0
	s_delay_alu instid0(VALU_DEP_1) | instskip(NEXT) | instid1(VALU_DEP_1)
	v_cndmask_b32_e64 v62, v62, -|v62|, s27
	v_fmac_f32_e32 v114, 0x42340000, v62
	v_fma_f32 v62, -v132, v63, 1.0
	s_wait_alu 0xfffe
	v_cndmask_b32_e64 v63, 0, 1.0, s0
	s_delay_alu instid0(VALU_DEP_2) | instskip(NEXT) | instid1(VALU_DEP_2)
	v_cndmask_b32_e64 v62, v62, 1.0, vcc_lo
	v_mul_f32_e32 v63, s30, v63
	s_delay_alu instid0(VALU_DEP_1) | instskip(SKIP_1) | instid1(VALU_DEP_2)
	v_dual_fmac_f32 v114, v62, v63 :: v_dual_sub_f32 v63, v44, v177
	v_sub_f32_e32 v62, v43, v176
	v_mul_f32_e32 v63, v63, v63
	s_delay_alu instid0(VALU_DEP_1) | instskip(NEXT) | instid1(VALU_DEP_1)
	v_fmac_f32_e32 v63, v62, v62
	v_fmac_f32_e32 v63, v64, v64
	s_delay_alu instid0(VALU_DEP_1) | instskip(SKIP_2) | instid1(VALU_DEP_1)
	v_cmp_gt_f32_e32 vcc_lo, 0xf800000, v63
	v_mul_f32_e32 v62, 0x4f800000, v63
	s_wait_alu 0xfffd
	v_cndmask_b32_e32 v62, v63, v62, vcc_lo
	s_delay_alu instid0(VALU_DEP_1) | instskip(NEXT) | instid1(TRANS32_DEP_1)
	v_sqrt_f32_e32 v63, v62
	v_add_nc_u32_e32 v64, -1, v63
	s_delay_alu instid0(VALU_DEP_1) | instskip(NEXT) | instid1(VALU_DEP_1)
	v_fma_f32 v65, -v64, v63, v62
	v_cmp_ge_f32_e64 s0, 0, v65
	v_add_nc_u32_e32 v65, 1, v63
	s_wait_alu 0xf1ff
	s_delay_alu instid0(VALU_DEP_2) | instskip(NEXT) | instid1(VALU_DEP_2)
	v_cndmask_b32_e64 v64, v63, v64, s0
	v_fma_f32 v63, -v65, v63, v62
	s_delay_alu instid0(VALU_DEP_1) | instskip(SKIP_1) | instid1(VALU_DEP_1)
	v_cmp_lt_f32_e64 s0, 0, v63
	s_wait_alu 0xf1ff
	v_cndmask_b32_e64 v63, v64, v65, s0
	s_delay_alu instid0(VALU_DEP_1) | instskip(NEXT) | instid1(VALU_DEP_1)
	v_mul_f32_e32 v64, 0x37800000, v63
	v_cndmask_b32_e32 v63, v63, v64, vcc_lo
	v_cmp_class_f32_e64 vcc_lo, v62, 0x260
	s_wait_alu 0xfffd
	s_delay_alu instid0(VALU_DEP_2) | instskip(NEXT) | instid1(VALU_DEP_1)
	v_cndmask_b32_e32 v62, v63, v62, vcc_lo
	v_sub_f32_e32 v63, v62, v179
	v_fma_f32 v62, -v61, v62, 1.0
	s_delay_alu instid0(VALU_DEP_2) | instskip(SKIP_3) | instid1(VALU_DEP_1)
	v_cmp_gt_f32_e32 vcc_lo, 0, v63
	v_cmp_gt_f32_e64 s0, s29, v63
	s_wait_alu 0xfffd
	v_cndmask_b32_e64 v64, 0, 0x42980000, vcc_lo
	v_fmac_f32_e32 v115, v62, v64
	v_fma_f32 v62, -s31, v63, 1.0
	s_wait_alu 0xf1ff
	v_cndmask_b32_e64 v64, 0, 1.0, s0
	v_cmp_gt_f32_e64 s0, s28, v63
	s_delay_alu instid0(VALU_DEP_3) | instskip(SKIP_1) | instid1(VALU_DEP_1)
	v_cndmask_b32_e64 v62, v62, 1.0, vcc_lo
	s_and_b32 s0, s26, s0
	v_mul_f32_e32 v62, v64, v62
	v_sub_f32_e32 v64, v48, v178
	s_delay_alu instid0(VALU_DEP_2) | instskip(NEXT) | instid1(VALU_DEP_1)
	v_mul_f32_e32 v62, v134, v62
	v_cndmask_b32_e64 v62, v62, -|v62|, s27
	s_delay_alu instid0(VALU_DEP_1) | instskip(SKIP_3) | instid1(VALU_DEP_2)
	v_fmac_f32_e32 v115, 0x42340000, v62
	v_fma_f32 v62, -v132, v63, 1.0
	s_wait_alu 0xfffe
	v_cndmask_b32_e64 v63, 0, 1.0, s0
	v_cndmask_b32_e64 v62, v62, 1.0, vcc_lo
	s_delay_alu instid0(VALU_DEP_2) | instskip(NEXT) | instid1(VALU_DEP_1)
	v_mul_f32_e32 v63, s30, v63
	v_fmac_f32_e32 v115, v62, v63
	v_dual_sub_f32 v63, v47, v177 :: v_dual_sub_f32 v62, v46, v176
	s_delay_alu instid0(VALU_DEP_1) | instskip(NEXT) | instid1(VALU_DEP_1)
	v_mul_f32_e32 v63, v63, v63
	v_fmac_f32_e32 v63, v62, v62
	s_delay_alu instid0(VALU_DEP_1) | instskip(NEXT) | instid1(VALU_DEP_1)
	v_fmac_f32_e32 v63, v64, v64
	v_cmp_gt_f32_e32 vcc_lo, 0xf800000, v63
	v_mul_f32_e32 v62, 0x4f800000, v63
	s_wait_alu 0xfffd
	s_delay_alu instid0(VALU_DEP_1) | instskip(NEXT) | instid1(VALU_DEP_1)
	v_cndmask_b32_e32 v62, v63, v62, vcc_lo
	v_sqrt_f32_e32 v63, v62
	s_delay_alu instid0(TRANS32_DEP_1) | instskip(NEXT) | instid1(VALU_DEP_1)
	v_add_nc_u32_e32 v64, -1, v63
	v_fma_f32 v65, -v64, v63, v62
	s_delay_alu instid0(VALU_DEP_1) | instskip(SKIP_2) | instid1(VALU_DEP_2)
	v_cmp_ge_f32_e64 s0, 0, v65
	v_add_nc_u32_e32 v65, 1, v63
	s_wait_alu 0xf1ff
	v_cndmask_b32_e64 v64, v63, v64, s0
	s_delay_alu instid0(VALU_DEP_2) | instskip(NEXT) | instid1(VALU_DEP_1)
	v_fma_f32 v63, -v65, v63, v62
	v_cmp_lt_f32_e64 s0, 0, v63
	s_wait_alu 0xf1ff
	s_delay_alu instid0(VALU_DEP_1) | instskip(NEXT) | instid1(VALU_DEP_1)
	v_cndmask_b32_e64 v63, v64, v65, s0
	v_mul_f32_e32 v64, 0x37800000, v63
	s_delay_alu instid0(VALU_DEP_1) | instskip(SKIP_2) | instid1(VALU_DEP_2)
	v_cndmask_b32_e32 v63, v63, v64, vcc_lo
	v_cmp_class_f32_e64 vcc_lo, v62, 0x260
	s_wait_alu 0xfffd
	v_cndmask_b32_e32 v62, v63, v62, vcc_lo
	s_delay_alu instid0(VALU_DEP_1) | instskip(SKIP_1) | instid1(VALU_DEP_2)
	v_sub_f32_e32 v63, v62, v179
	v_fma_f32 v62, -v61, v62, 1.0
	v_cmp_gt_f32_e32 vcc_lo, 0, v63
	v_cmp_gt_f32_e64 s0, s29, v63
	s_wait_alu 0xfffd
	v_cndmask_b32_e64 v64, 0, 0x42980000, vcc_lo
	s_delay_alu instid0(VALU_DEP_1) | instskip(SKIP_4) | instid1(VALU_DEP_3)
	v_fmac_f32_e32 v108, v62, v64
	v_fma_f32 v62, -s31, v63, 1.0
	s_wait_alu 0xf1ff
	v_cndmask_b32_e64 v64, 0, 1.0, s0
	v_cmp_gt_f32_e64 s0, s28, v63
	v_cndmask_b32_e64 v62, v62, 1.0, vcc_lo
	s_and_b32 s0, s26, s0
	s_delay_alu instid0(VALU_DEP_1) | instskip(SKIP_1) | instid1(VALU_DEP_2)
	v_mul_f32_e32 v62, v64, v62
	v_sub_f32_e32 v64, v51, v178
	v_mul_f32_e32 v62, v134, v62
	s_delay_alu instid0(VALU_DEP_1) | instskip(NEXT) | instid1(VALU_DEP_1)
	v_cndmask_b32_e64 v62, v62, -|v62|, s27
	v_fmac_f32_e32 v108, 0x42340000, v62
	v_fma_f32 v62, -v132, v63, 1.0
	s_wait_alu 0xfffe
	v_cndmask_b32_e64 v63, 0, 1.0, s0
	s_delay_alu instid0(VALU_DEP_2) | instskip(NEXT) | instid1(VALU_DEP_2)
	v_cndmask_b32_e64 v62, v62, 1.0, vcc_lo
	v_mul_f32_e32 v63, s30, v63
	s_delay_alu instid0(VALU_DEP_1) | instskip(SKIP_1) | instid1(VALU_DEP_1)
	v_fmac_f32_e32 v108, v62, v63
	v_dual_sub_f32 v63, v50, v177 :: v_dual_sub_f32 v62, v49, v176
	v_mul_f32_e32 v63, v63, v63
	s_delay_alu instid0(VALU_DEP_1) | instskip(NEXT) | instid1(VALU_DEP_1)
	v_fmac_f32_e32 v63, v62, v62
	v_fmac_f32_e32 v63, v64, v64
	s_delay_alu instid0(VALU_DEP_1) | instskip(SKIP_2) | instid1(VALU_DEP_1)
	v_cmp_gt_f32_e32 vcc_lo, 0xf800000, v63
	v_mul_f32_e32 v62, 0x4f800000, v63
	s_wait_alu 0xfffd
	v_cndmask_b32_e32 v62, v63, v62, vcc_lo
	s_delay_alu instid0(VALU_DEP_1) | instskip(NEXT) | instid1(TRANS32_DEP_1)
	v_sqrt_f32_e32 v63, v62
	v_add_nc_u32_e32 v64, -1, v63
	s_delay_alu instid0(VALU_DEP_1) | instskip(NEXT) | instid1(VALU_DEP_1)
	v_fma_f32 v65, -v64, v63, v62
	v_cmp_ge_f32_e64 s0, 0, v65
	v_add_nc_u32_e32 v65, 1, v63
	s_wait_alu 0xf1ff
	s_delay_alu instid0(VALU_DEP_2) | instskip(NEXT) | instid1(VALU_DEP_2)
	v_cndmask_b32_e64 v64, v63, v64, s0
	v_fma_f32 v63, -v65, v63, v62
	s_delay_alu instid0(VALU_DEP_1) | instskip(SKIP_1) | instid1(VALU_DEP_1)
	v_cmp_lt_f32_e64 s0, 0, v63
	s_wait_alu 0xf1ff
	v_cndmask_b32_e64 v63, v64, v65, s0
	s_delay_alu instid0(VALU_DEP_1) | instskip(NEXT) | instid1(VALU_DEP_1)
	v_mul_f32_e32 v64, 0x37800000, v63
	v_cndmask_b32_e32 v63, v63, v64, vcc_lo
	v_cmp_class_f32_e64 vcc_lo, v62, 0x260
	s_wait_alu 0xfffd
	s_delay_alu instid0(VALU_DEP_2) | instskip(NEXT) | instid1(VALU_DEP_1)
	v_cndmask_b32_e32 v62, v63, v62, vcc_lo
	v_sub_f32_e32 v63, v62, v179
	v_fma_f32 v62, -v61, v62, 1.0
	s_delay_alu instid0(VALU_DEP_2) | instskip(SKIP_3) | instid1(VALU_DEP_1)
	v_cmp_gt_f32_e32 vcc_lo, 0, v63
	v_cmp_gt_f32_e64 s0, s29, v63
	s_wait_alu 0xfffd
	v_cndmask_b32_e64 v64, 0, 0x42980000, vcc_lo
	v_fmac_f32_e32 v109, v62, v64
	v_fma_f32 v62, -s31, v63, 1.0
	s_wait_alu 0xf1ff
	v_cndmask_b32_e64 v64, 0, 1.0, s0
	v_cmp_gt_f32_e64 s0, s28, v63
	s_delay_alu instid0(VALU_DEP_3) | instskip(SKIP_1) | instid1(VALU_DEP_1)
	v_cndmask_b32_e64 v62, v62, 1.0, vcc_lo
	s_and_b32 s0, s26, s0
	v_mul_f32_e32 v62, v64, v62
	v_sub_f32_e32 v64, v54, v178
	s_delay_alu instid0(VALU_DEP_2) | instskip(NEXT) | instid1(VALU_DEP_1)
	v_mul_f32_e32 v62, v134, v62
	v_cndmask_b32_e64 v62, v62, -|v62|, s27
	s_delay_alu instid0(VALU_DEP_1) | instskip(SKIP_3) | instid1(VALU_DEP_2)
	v_fmac_f32_e32 v109, 0x42340000, v62
	v_fma_f32 v62, -v132, v63, 1.0
	s_wait_alu 0xfffe
	v_cndmask_b32_e64 v63, 0, 1.0, s0
	v_cndmask_b32_e64 v62, v62, 1.0, vcc_lo
	s_delay_alu instid0(VALU_DEP_2) | instskip(NEXT) | instid1(VALU_DEP_1)
	v_mul_f32_e32 v63, s30, v63
	v_fmac_f32_e32 v109, v62, v63
	v_dual_sub_f32 v63, v53, v177 :: v_dual_sub_f32 v62, v52, v176
	s_delay_alu instid0(VALU_DEP_1) | instskip(NEXT) | instid1(VALU_DEP_1)
	v_mul_f32_e32 v63, v63, v63
	v_fmac_f32_e32 v63, v62, v62
	s_delay_alu instid0(VALU_DEP_1) | instskip(NEXT) | instid1(VALU_DEP_1)
	v_fmac_f32_e32 v63, v64, v64
	v_cmp_gt_f32_e32 vcc_lo, 0xf800000, v63
	v_mul_f32_e32 v62, 0x4f800000, v63
	s_wait_alu 0xfffd
	s_delay_alu instid0(VALU_DEP_1) | instskip(NEXT) | instid1(VALU_DEP_1)
	v_cndmask_b32_e32 v62, v63, v62, vcc_lo
	v_sqrt_f32_e32 v63, v62
	s_delay_alu instid0(TRANS32_DEP_1) | instskip(NEXT) | instid1(VALU_DEP_1)
	v_add_nc_u32_e32 v64, -1, v63
	v_fma_f32 v65, -v64, v63, v62
	s_delay_alu instid0(VALU_DEP_1) | instskip(SKIP_2) | instid1(VALU_DEP_2)
	v_cmp_ge_f32_e64 s0, 0, v65
	v_add_nc_u32_e32 v65, 1, v63
	s_wait_alu 0xf1ff
	v_cndmask_b32_e64 v64, v63, v64, s0
	s_delay_alu instid0(VALU_DEP_2) | instskip(NEXT) | instid1(VALU_DEP_1)
	v_fma_f32 v63, -v65, v63, v62
	v_cmp_lt_f32_e64 s0, 0, v63
	s_wait_alu 0xf1ff
	s_delay_alu instid0(VALU_DEP_1) | instskip(NEXT) | instid1(VALU_DEP_1)
	v_cndmask_b32_e64 v63, v64, v65, s0
	v_mul_f32_e32 v64, 0x37800000, v63
	s_delay_alu instid0(VALU_DEP_1) | instskip(SKIP_2) | instid1(VALU_DEP_2)
	v_cndmask_b32_e32 v63, v63, v64, vcc_lo
	v_cmp_class_f32_e64 vcc_lo, v62, 0x260
	s_wait_alu 0xfffd
	v_cndmask_b32_e32 v62, v63, v62, vcc_lo
	s_delay_alu instid0(VALU_DEP_1) | instskip(SKIP_1) | instid1(VALU_DEP_2)
	v_sub_f32_e32 v63, v62, v179
	v_fma_f32 v62, -v61, v62, 1.0
	v_cmp_gt_f32_e32 vcc_lo, 0, v63
	v_cmp_gt_f32_e64 s0, s29, v63
	s_wait_alu 0xfffd
	v_cndmask_b32_e64 v64, 0, 0x42980000, vcc_lo
	s_delay_alu instid0(VALU_DEP_1) | instskip(SKIP_3) | instid1(VALU_DEP_2)
	v_fmac_f32_e32 v110, v62, v64
	v_fma_f32 v62, -s31, v63, 1.0
	s_wait_alu 0xf1ff
	v_cndmask_b32_e64 v64, 0, 1.0, s0
	v_cndmask_b32_e64 v62, v62, 1.0, vcc_lo
	s_delay_alu instid0(VALU_DEP_1) | instskip(SKIP_2) | instid1(VALU_DEP_3)
	v_mul_f32_e32 v62, v64, v62
	v_cmp_gt_f32_e64 s0, s28, v63
	v_sub_f32_e32 v64, v57, v178
	v_mul_f32_e32 v62, v134, v62
	s_and_b32 s0, s26, s0
	s_delay_alu instid0(VALU_DEP_1) | instskip(NEXT) | instid1(VALU_DEP_1)
	v_cndmask_b32_e64 v62, v62, -|v62|, s27
	v_fmac_f32_e32 v110, 0x42340000, v62
	v_fma_f32 v62, -v132, v63, 1.0
	s_wait_alu 0xfffe
	v_cndmask_b32_e64 v63, 0, 1.0, s0
	s_delay_alu instid0(VALU_DEP_2) | instskip(NEXT) | instid1(VALU_DEP_2)
	v_cndmask_b32_e64 v62, v62, 1.0, vcc_lo
	v_mul_f32_e32 v63, s30, v63
	s_delay_alu instid0(VALU_DEP_1) | instskip(SKIP_1) | instid1(VALU_DEP_2)
	v_dual_fmac_f32 v110, v62, v63 :: v_dual_sub_f32 v63, v56, v177
	v_sub_f32_e32 v62, v55, v176
	v_mul_f32_e32 v63, v63, v63
	s_delay_alu instid0(VALU_DEP_1) | instskip(NEXT) | instid1(VALU_DEP_1)
	v_fmac_f32_e32 v63, v62, v62
	v_fmac_f32_e32 v63, v64, v64
	s_delay_alu instid0(VALU_DEP_1) | instskip(SKIP_2) | instid1(VALU_DEP_1)
	v_cmp_gt_f32_e32 vcc_lo, 0xf800000, v63
	v_mul_f32_e32 v62, 0x4f800000, v63
	s_wait_alu 0xfffd
	v_cndmask_b32_e32 v62, v63, v62, vcc_lo
	s_delay_alu instid0(VALU_DEP_1) | instskip(NEXT) | instid1(TRANS32_DEP_1)
	v_sqrt_f32_e32 v63, v62
	v_add_nc_u32_e32 v64, -1, v63
	s_delay_alu instid0(VALU_DEP_1) | instskip(NEXT) | instid1(VALU_DEP_1)
	v_fma_f32 v65, -v64, v63, v62
	v_cmp_ge_f32_e64 s0, 0, v65
	v_add_nc_u32_e32 v65, 1, v63
	s_wait_alu 0xf1ff
	s_delay_alu instid0(VALU_DEP_2) | instskip(NEXT) | instid1(VALU_DEP_2)
	v_cndmask_b32_e64 v64, v63, v64, s0
	v_fma_f32 v63, -v65, v63, v62
	s_delay_alu instid0(VALU_DEP_1) | instskip(SKIP_1) | instid1(VALU_DEP_1)
	v_cmp_lt_f32_e64 s0, 0, v63
	s_wait_alu 0xf1ff
	v_cndmask_b32_e64 v63, v64, v65, s0
	s_delay_alu instid0(VALU_DEP_1) | instskip(NEXT) | instid1(VALU_DEP_1)
	v_mul_f32_e32 v64, 0x37800000, v63
	v_cndmask_b32_e32 v63, v63, v64, vcc_lo
	v_cmp_class_f32_e64 vcc_lo, v62, 0x260
	s_wait_alu 0xfffd
	s_delay_alu instid0(VALU_DEP_2) | instskip(NEXT) | instid1(VALU_DEP_1)
	v_cndmask_b32_e32 v62, v63, v62, vcc_lo
	v_sub_f32_e32 v63, v62, v179
	v_fma_f32 v62, -v61, v62, 1.0
	s_delay_alu instid0(VALU_DEP_2) | instskip(SKIP_3) | instid1(VALU_DEP_1)
	v_cmp_gt_f32_e32 vcc_lo, 0, v63
	v_cmp_gt_f32_e64 s0, s29, v63
	s_wait_alu 0xfffd
	v_cndmask_b32_e64 v64, 0, 0x42980000, vcc_lo
	v_fmac_f32_e32 v111, v62, v64
	v_fma_f32 v62, -s31, v63, 1.0
	s_wait_alu 0xf1ff
	v_cndmask_b32_e64 v64, 0, 1.0, s0
	v_cmp_gt_f32_e64 s0, s28, v63
	s_delay_alu instid0(VALU_DEP_3) | instskip(SKIP_1) | instid1(VALU_DEP_1)
	v_cndmask_b32_e64 v62, v62, 1.0, vcc_lo
	s_and_b32 s0, s26, s0
	v_mul_f32_e32 v62, v64, v62
	v_sub_f32_e32 v64, v60, v178
	s_delay_alu instid0(VALU_DEP_2) | instskip(NEXT) | instid1(VALU_DEP_1)
	v_mul_f32_e32 v62, v134, v62
	v_cndmask_b32_e64 v62, v62, -|v62|, s27
	s_delay_alu instid0(VALU_DEP_1) | instskip(SKIP_3) | instid1(VALU_DEP_2)
	v_fmac_f32_e32 v111, 0x42340000, v62
	v_fma_f32 v62, -v132, v63, 1.0
	s_wait_alu 0xfffe
	v_cndmask_b32_e64 v63, 0, 1.0, s0
	v_cndmask_b32_e64 v62, v62, 1.0, vcc_lo
	s_delay_alu instid0(VALU_DEP_2) | instskip(NEXT) | instid1(VALU_DEP_1)
	v_mul_f32_e32 v63, s30, v63
	v_fmac_f32_e32 v111, v62, v63
	v_dual_sub_f32 v63, v59, v177 :: v_dual_sub_f32 v62, v58, v176
	s_delay_alu instid0(VALU_DEP_1) | instskip(NEXT) | instid1(VALU_DEP_1)
	v_mul_f32_e32 v63, v63, v63
	v_fmac_f32_e32 v63, v62, v62
	s_delay_alu instid0(VALU_DEP_1) | instskip(NEXT) | instid1(VALU_DEP_1)
	v_fmac_f32_e32 v63, v64, v64
	v_cmp_gt_f32_e32 vcc_lo, 0xf800000, v63
	v_mul_f32_e32 v62, 0x4f800000, v63
	s_wait_alu 0xfffd
	s_delay_alu instid0(VALU_DEP_1) | instskip(NEXT) | instid1(VALU_DEP_1)
	v_cndmask_b32_e32 v62, v63, v62, vcc_lo
	v_sqrt_f32_e32 v63, v62
	s_delay_alu instid0(TRANS32_DEP_1) | instskip(NEXT) | instid1(VALU_DEP_1)
	v_add_nc_u32_e32 v64, -1, v63
	v_fma_f32 v65, -v64, v63, v62
	s_delay_alu instid0(VALU_DEP_1) | instskip(SKIP_2) | instid1(VALU_DEP_2)
	v_cmp_ge_f32_e64 s0, 0, v65
	v_add_nc_u32_e32 v65, 1, v63
	s_wait_alu 0xf1ff
	v_cndmask_b32_e64 v64, v63, v64, s0
	s_delay_alu instid0(VALU_DEP_2) | instskip(NEXT) | instid1(VALU_DEP_1)
	v_fma_f32 v63, -v65, v63, v62
	v_cmp_lt_f32_e64 s0, 0, v63
	s_wait_alu 0xf1ff
	s_delay_alu instid0(VALU_DEP_1) | instskip(NEXT) | instid1(VALU_DEP_1)
	v_cndmask_b32_e64 v63, v64, v65, s0
	v_mul_f32_e32 v64, 0x37800000, v63
	s_delay_alu instid0(VALU_DEP_1) | instskip(SKIP_2) | instid1(VALU_DEP_2)
	v_cndmask_b32_e32 v63, v63, v64, vcc_lo
	v_cmp_class_f32_e64 vcc_lo, v62, 0x260
	s_wait_alu 0xfffd
	v_cndmask_b32_e32 v62, v63, v62, vcc_lo
	s_delay_alu instid0(VALU_DEP_1) | instskip(SKIP_1) | instid1(VALU_DEP_2)
	v_sub_f32_e32 v63, v62, v179
	v_fma_f32 v62, -v61, v62, 1.0
	v_cmp_gt_f32_e32 vcc_lo, 0, v63
	v_cmp_gt_f32_e64 s0, s29, v63
	s_wait_alu 0xfffd
	v_cndmask_b32_e64 v64, 0, 0x42980000, vcc_lo
	s_delay_alu instid0(VALU_DEP_1) | instskip(SKIP_4) | instid1(VALU_DEP_3)
	v_fmac_f32_e32 v172, v62, v64
	v_fma_f32 v62, -s31, v63, 1.0
	s_wait_alu 0xf1ff
	v_cndmask_b32_e64 v64, 0, 1.0, s0
	v_cmp_gt_f32_e64 s0, s28, v63
	v_cndmask_b32_e64 v62, v62, 1.0, vcc_lo
	s_and_b32 s0, s26, s0
	s_delay_alu instid0(VALU_DEP_1) | instskip(SKIP_2) | instid1(VALU_DEP_1)
	v_mul_f32_e32 v62, v64, v62
	scratch_load_b32 v64, off, off offset:3336 ; 4-byte Folded Reload
	v_mul_f32_e32 v62, v134, v62
	v_cndmask_b32_e64 v62, v62, -|v62|, s27
	s_delay_alu instid0(VALU_DEP_1) | instskip(SKIP_3) | instid1(VALU_DEP_2)
	v_fmac_f32_e32 v172, 0x42340000, v62
	v_fma_f32 v62, -v132, v63, 1.0
	s_wait_alu 0xfffe
	v_cndmask_b32_e64 v63, 0, 1.0, s0
	v_cndmask_b32_e64 v62, v62, 1.0, vcc_lo
	s_delay_alu instid0(VALU_DEP_2) | instskip(NEXT) | instid1(VALU_DEP_1)
	v_mul_f32_e32 v63, s30, v63
	v_fmac_f32_e32 v172, v62, v63
	s_clause 0x1
	scratch_load_b32 v62, off, off offset:3328
	scratch_load_b32 v63, off, off offset:3332
	s_wait_loadcnt 0x2
	v_sub_f32_e32 v64, v64, v178
	s_wait_loadcnt 0x0
	v_dual_sub_f32 v62, v62, v176 :: v_dual_sub_f32 v63, v63, v177
	s_delay_alu instid0(VALU_DEP_1) | instskip(NEXT) | instid1(VALU_DEP_1)
	v_mul_f32_e32 v63, v63, v63
	v_fmac_f32_e32 v63, v62, v62
	s_delay_alu instid0(VALU_DEP_1) | instskip(NEXT) | instid1(VALU_DEP_1)
	v_fmac_f32_e32 v63, v64, v64
	v_cmp_gt_f32_e32 vcc_lo, 0xf800000, v63
	v_mul_f32_e32 v62, 0x4f800000, v63
	s_wait_alu 0xfffd
	s_delay_alu instid0(VALU_DEP_1) | instskip(NEXT) | instid1(VALU_DEP_1)
	v_cndmask_b32_e32 v62, v63, v62, vcc_lo
	v_sqrt_f32_e32 v63, v62
	s_delay_alu instid0(TRANS32_DEP_1) | instskip(NEXT) | instid1(VALU_DEP_1)
	v_add_nc_u32_e32 v64, -1, v63
	v_fma_f32 v65, -v64, v63, v62
	s_delay_alu instid0(VALU_DEP_1) | instskip(SKIP_2) | instid1(VALU_DEP_2)
	v_cmp_ge_f32_e64 s0, 0, v65
	v_add_nc_u32_e32 v65, 1, v63
	s_wait_alu 0xf1ff
	v_cndmask_b32_e64 v64, v63, v64, s0
	s_delay_alu instid0(VALU_DEP_2) | instskip(NEXT) | instid1(VALU_DEP_1)
	v_fma_f32 v63, -v65, v63, v62
	v_cmp_lt_f32_e64 s0, 0, v63
	s_wait_alu 0xf1ff
	s_delay_alu instid0(VALU_DEP_1) | instskip(NEXT) | instid1(VALU_DEP_1)
	v_cndmask_b32_e64 v63, v64, v65, s0
	v_mul_f32_e32 v64, 0x37800000, v63
	s_delay_alu instid0(VALU_DEP_1) | instskip(SKIP_2) | instid1(VALU_DEP_2)
	v_cndmask_b32_e32 v63, v63, v64, vcc_lo
	v_cmp_class_f32_e64 vcc_lo, v62, 0x260
	s_wait_alu 0xfffd
	v_cndmask_b32_e32 v62, v63, v62, vcc_lo
	s_delay_alu instid0(VALU_DEP_1) | instskip(SKIP_1) | instid1(VALU_DEP_2)
	v_sub_f32_e32 v63, v62, v179
	v_fma_f32 v62, -v61, v62, 1.0
	v_cmp_gt_f32_e32 vcc_lo, 0, v63
	v_cmp_gt_f32_e64 s0, s29, v63
	s_wait_alu 0xfffd
	v_cndmask_b32_e64 v64, 0, 0x42980000, vcc_lo
	s_delay_alu instid0(VALU_DEP_1) | instskip(SKIP_4) | instid1(VALU_DEP_3)
	v_fmac_f32_e32 v173, v62, v64
	v_fma_f32 v62, -s31, v63, 1.0
	s_wait_alu 0xf1ff
	v_cndmask_b32_e64 v64, 0, 1.0, s0
	v_cmp_gt_f32_e64 s0, s28, v63
	v_cndmask_b32_e64 v62, v62, 1.0, vcc_lo
	s_and_b32 s0, s26, s0
	s_delay_alu instid0(VALU_DEP_1) | instskip(SKIP_2) | instid1(VALU_DEP_1)
	v_mul_f32_e32 v62, v64, v62
	scratch_load_b32 v64, off, off offset:3348 ; 4-byte Folded Reload
	v_mul_f32_e32 v62, v134, v62
	v_cndmask_b32_e64 v62, v62, -|v62|, s27
	s_delay_alu instid0(VALU_DEP_1) | instskip(SKIP_3) | instid1(VALU_DEP_2)
	v_fmac_f32_e32 v173, 0x42340000, v62
	v_fma_f32 v62, -v132, v63, 1.0
	s_wait_alu 0xfffe
	v_cndmask_b32_e64 v63, 0, 1.0, s0
	v_cndmask_b32_e64 v62, v62, 1.0, vcc_lo
	s_delay_alu instid0(VALU_DEP_2) | instskip(NEXT) | instid1(VALU_DEP_1)
	v_mul_f32_e32 v63, s30, v63
	v_fmac_f32_e32 v173, v62, v63
	s_clause 0x1
	scratch_load_b32 v62, off, off offset:3340
	scratch_load_b32 v63, off, off offset:3344
	s_wait_loadcnt 0x2
	v_sub_f32_e32 v64, v64, v178
	s_wait_loadcnt 0x0
	v_dual_sub_f32 v62, v62, v176 :: v_dual_sub_f32 v63, v63, v177
	s_delay_alu instid0(VALU_DEP_1) | instskip(NEXT) | instid1(VALU_DEP_1)
	v_mul_f32_e32 v63, v63, v63
	v_fmac_f32_e32 v63, v62, v62
	s_delay_alu instid0(VALU_DEP_1) | instskip(NEXT) | instid1(VALU_DEP_1)
	v_fmac_f32_e32 v63, v64, v64
	v_cmp_gt_f32_e32 vcc_lo, 0xf800000, v63
	v_mul_f32_e32 v62, 0x4f800000, v63
	s_wait_alu 0xfffd
	s_delay_alu instid0(VALU_DEP_1) | instskip(NEXT) | instid1(VALU_DEP_1)
	v_cndmask_b32_e32 v62, v63, v62, vcc_lo
	v_sqrt_f32_e32 v63, v62
	s_delay_alu instid0(TRANS32_DEP_1) | instskip(NEXT) | instid1(VALU_DEP_1)
	v_add_nc_u32_e32 v64, -1, v63
	v_fma_f32 v65, -v64, v63, v62
	s_delay_alu instid0(VALU_DEP_1) | instskip(SKIP_2) | instid1(VALU_DEP_2)
	v_cmp_ge_f32_e64 s0, 0, v65
	v_add_nc_u32_e32 v65, 1, v63
	s_wait_alu 0xf1ff
	v_cndmask_b32_e64 v64, v63, v64, s0
	s_delay_alu instid0(VALU_DEP_2) | instskip(NEXT) | instid1(VALU_DEP_1)
	v_fma_f32 v63, -v65, v63, v62
	v_cmp_lt_f32_e64 s0, 0, v63
	s_wait_alu 0xf1ff
	s_delay_alu instid0(VALU_DEP_1) | instskip(NEXT) | instid1(VALU_DEP_1)
	v_cndmask_b32_e64 v63, v64, v65, s0
	v_mul_f32_e32 v64, 0x37800000, v63
	s_delay_alu instid0(VALU_DEP_1) | instskip(SKIP_2) | instid1(VALU_DEP_2)
	v_cndmask_b32_e32 v63, v63, v64, vcc_lo
	v_cmp_class_f32_e64 vcc_lo, v62, 0x260
	s_wait_alu 0xfffd
	v_cndmask_b32_e32 v62, v63, v62, vcc_lo
	s_delay_alu instid0(VALU_DEP_1) | instskip(SKIP_1) | instid1(VALU_DEP_2)
	v_sub_f32_e32 v63, v62, v179
	v_fma_f32 v62, -v61, v62, 1.0
	v_cmp_gt_f32_e32 vcc_lo, 0, v63
	v_cmp_gt_f32_e64 s0, s29, v63
	s_wait_alu 0xfffd
	v_cndmask_b32_e64 v64, 0, 0x42980000, vcc_lo
	s_delay_alu instid0(VALU_DEP_1) | instskip(SKIP_4) | instid1(VALU_DEP_3)
	v_fmac_f32_e32 v174, v62, v64
	v_fma_f32 v62, -s31, v63, 1.0
	s_wait_alu 0xf1ff
	v_cndmask_b32_e64 v64, 0, 1.0, s0
	v_cmp_gt_f32_e64 s0, s28, v63
	v_cndmask_b32_e64 v62, v62, 1.0, vcc_lo
	s_and_b32 s0, s26, s0
	s_delay_alu instid0(VALU_DEP_1) | instskip(SKIP_2) | instid1(VALU_DEP_1)
	v_mul_f32_e32 v62, v64, v62
	scratch_load_b32 v64, off, off offset:3360 ; 4-byte Folded Reload
	v_mul_f32_e32 v62, v134, v62
	v_cndmask_b32_e64 v62, v62, -|v62|, s27
	s_delay_alu instid0(VALU_DEP_1) | instskip(SKIP_3) | instid1(VALU_DEP_2)
	v_fmac_f32_e32 v174, 0x42340000, v62
	v_fma_f32 v62, -v132, v63, 1.0
	s_wait_alu 0xfffe
	v_cndmask_b32_e64 v63, 0, 1.0, s0
	v_cndmask_b32_e64 v62, v62, 1.0, vcc_lo
	s_delay_alu instid0(VALU_DEP_2) | instskip(NEXT) | instid1(VALU_DEP_1)
	v_mul_f32_e32 v63, s30, v63
	v_fmac_f32_e32 v174, v62, v63
	s_clause 0x1
	scratch_load_b32 v62, off, off offset:3352
	scratch_load_b32 v63, off, off offset:3356
	s_wait_loadcnt 0x2
	v_sub_f32_e32 v64, v64, v178
	s_wait_loadcnt 0x0
	v_dual_sub_f32 v62, v62, v176 :: v_dual_sub_f32 v63, v63, v177
	s_delay_alu instid0(VALU_DEP_1) | instskip(NEXT) | instid1(VALU_DEP_1)
	v_mul_f32_e32 v63, v63, v63
	v_fmac_f32_e32 v63, v62, v62
	s_delay_alu instid0(VALU_DEP_1) | instskip(NEXT) | instid1(VALU_DEP_1)
	v_fmac_f32_e32 v63, v64, v64
	v_cmp_gt_f32_e32 vcc_lo, 0xf800000, v63
	v_mul_f32_e32 v62, 0x4f800000, v63
	s_wait_alu 0xfffd
	s_delay_alu instid0(VALU_DEP_1) | instskip(NEXT) | instid1(VALU_DEP_1)
	v_cndmask_b32_e32 v62, v63, v62, vcc_lo
	v_sqrt_f32_e32 v63, v62
	s_delay_alu instid0(TRANS32_DEP_1) | instskip(NEXT) | instid1(VALU_DEP_1)
	v_add_nc_u32_e32 v64, -1, v63
	v_fma_f32 v65, -v64, v63, v62
	s_delay_alu instid0(VALU_DEP_1) | instskip(SKIP_2) | instid1(VALU_DEP_2)
	v_cmp_ge_f32_e64 s0, 0, v65
	v_add_nc_u32_e32 v65, 1, v63
	s_wait_alu 0xf1ff
	v_cndmask_b32_e64 v64, v63, v64, s0
	s_delay_alu instid0(VALU_DEP_2) | instskip(NEXT) | instid1(VALU_DEP_1)
	v_fma_f32 v63, -v65, v63, v62
	v_cmp_lt_f32_e64 s0, 0, v63
	s_wait_alu 0xf1ff
	s_delay_alu instid0(VALU_DEP_1) | instskip(NEXT) | instid1(VALU_DEP_1)
	v_cndmask_b32_e64 v63, v64, v65, s0
	v_mul_f32_e32 v64, 0x37800000, v63
	s_delay_alu instid0(VALU_DEP_1) | instskip(SKIP_2) | instid1(VALU_DEP_2)
	v_cndmask_b32_e32 v63, v63, v64, vcc_lo
	v_cmp_class_f32_e64 vcc_lo, v62, 0x260
	s_wait_alu 0xfffd
	v_cndmask_b32_e32 v62, v63, v62, vcc_lo
	s_delay_alu instid0(VALU_DEP_1) | instskip(SKIP_1) | instid1(VALU_DEP_2)
	v_sub_f32_e32 v63, v62, v179
	v_fma_f32 v62, -v61, v62, 1.0
	v_cmp_gt_f32_e32 vcc_lo, 0, v63
	v_cmp_gt_f32_e64 s0, s29, v63
	s_wait_alu 0xfffd
	v_cndmask_b32_e64 v64, 0, 0x42980000, vcc_lo
	s_delay_alu instid0(VALU_DEP_1) | instskip(SKIP_4) | instid1(VALU_DEP_3)
	v_fmac_f32_e32 v175, v62, v64
	v_fma_f32 v62, -s31, v63, 1.0
	s_wait_alu 0xf1ff
	v_cndmask_b32_e64 v64, 0, 1.0, s0
	v_cmp_gt_f32_e64 s0, s28, v63
	v_cndmask_b32_e64 v62, v62, 1.0, vcc_lo
	s_and_b32 s0, s26, s0
	s_delay_alu instid0(VALU_DEP_1) | instskip(SKIP_2) | instid1(VALU_DEP_1)
	v_mul_f32_e32 v62, v64, v62
	scratch_load_b32 v64, off, off offset:3372 ; 4-byte Folded Reload
	v_mul_f32_e32 v62, v134, v62
	v_cndmask_b32_e64 v62, v62, -|v62|, s27
	s_delay_alu instid0(VALU_DEP_1) | instskip(SKIP_3) | instid1(VALU_DEP_2)
	v_fmac_f32_e32 v175, 0x42340000, v62
	v_fma_f32 v62, -v132, v63, 1.0
	s_wait_alu 0xfffe
	v_cndmask_b32_e64 v63, 0, 1.0, s0
	v_cndmask_b32_e64 v62, v62, 1.0, vcc_lo
	s_delay_alu instid0(VALU_DEP_2) | instskip(NEXT) | instid1(VALU_DEP_1)
	v_mul_f32_e32 v63, s30, v63
	v_fmac_f32_e32 v175, v62, v63
	s_clause 0x1
	scratch_load_b32 v62, off, off offset:3364
	scratch_load_b32 v63, off, off offset:3368
	s_wait_loadcnt 0x2
	v_sub_f32_e32 v64, v64, v178
	s_wait_loadcnt 0x0
	v_dual_sub_f32 v62, v62, v176 :: v_dual_sub_f32 v63, v63, v177
	s_delay_alu instid0(VALU_DEP_1) | instskip(NEXT) | instid1(VALU_DEP_1)
	v_mul_f32_e32 v63, v63, v63
	v_fmac_f32_e32 v63, v62, v62
	s_delay_alu instid0(VALU_DEP_1) | instskip(NEXT) | instid1(VALU_DEP_1)
	v_fmac_f32_e32 v63, v64, v64
	v_cmp_gt_f32_e32 vcc_lo, 0xf800000, v63
	v_mul_f32_e32 v62, 0x4f800000, v63
	s_wait_alu 0xfffd
	s_delay_alu instid0(VALU_DEP_1) | instskip(NEXT) | instid1(VALU_DEP_1)
	v_cndmask_b32_e32 v62, v63, v62, vcc_lo
	v_sqrt_f32_e32 v63, v62
	s_delay_alu instid0(TRANS32_DEP_1) | instskip(NEXT) | instid1(VALU_DEP_1)
	v_add_nc_u32_e32 v64, -1, v63
	v_fma_f32 v65, -v64, v63, v62
	s_delay_alu instid0(VALU_DEP_1) | instskip(SKIP_2) | instid1(VALU_DEP_2)
	v_cmp_ge_f32_e64 s0, 0, v65
	v_add_nc_u32_e32 v65, 1, v63
	s_wait_alu 0xf1ff
	v_cndmask_b32_e64 v64, v63, v64, s0
	s_delay_alu instid0(VALU_DEP_2) | instskip(NEXT) | instid1(VALU_DEP_1)
	v_fma_f32 v63, -v65, v63, v62
	v_cmp_lt_f32_e64 s0, 0, v63
	s_wait_alu 0xf1ff
	s_delay_alu instid0(VALU_DEP_1) | instskip(NEXT) | instid1(VALU_DEP_1)
	v_cndmask_b32_e64 v63, v64, v65, s0
	v_mul_f32_e32 v64, 0x37800000, v63
	s_delay_alu instid0(VALU_DEP_1) | instskip(SKIP_2) | instid1(VALU_DEP_2)
	v_cndmask_b32_e32 v63, v63, v64, vcc_lo
	v_cmp_class_f32_e64 vcc_lo, v62, 0x260
	s_wait_alu 0xfffd
	v_cndmask_b32_e32 v62, v63, v62, vcc_lo
	s_delay_alu instid0(VALU_DEP_1) | instskip(SKIP_1) | instid1(VALU_DEP_2)
	v_sub_f32_e32 v63, v62, v179
	v_fma_f32 v62, -v61, v62, 1.0
	v_cmp_gt_f32_e32 vcc_lo, 0, v63
	v_cmp_gt_f32_e64 s0, s29, v63
	s_wait_alu 0xfffd
	v_cndmask_b32_e64 v64, 0, 0x42980000, vcc_lo
	s_delay_alu instid0(VALU_DEP_1) | instskip(SKIP_4) | instid1(VALU_DEP_3)
	v_fmac_f32_e32 v168, v62, v64
	v_fma_f32 v62, -s31, v63, 1.0
	s_wait_alu 0xf1ff
	v_cndmask_b32_e64 v64, 0, 1.0, s0
	v_cmp_gt_f32_e64 s0, s28, v63
	v_cndmask_b32_e64 v62, v62, 1.0, vcc_lo
	s_and_b32 s0, s26, s0
	s_delay_alu instid0(VALU_DEP_1) | instskip(SKIP_2) | instid1(VALU_DEP_1)
	v_mul_f32_e32 v62, v64, v62
	scratch_load_b32 v64, off, off offset:3384 ; 4-byte Folded Reload
	v_mul_f32_e32 v62, v134, v62
	v_cndmask_b32_e64 v62, v62, -|v62|, s27
	s_delay_alu instid0(VALU_DEP_1) | instskip(SKIP_3) | instid1(VALU_DEP_2)
	v_fmac_f32_e32 v168, 0x42340000, v62
	v_fma_f32 v62, -v132, v63, 1.0
	s_wait_alu 0xfffe
	v_cndmask_b32_e64 v63, 0, 1.0, s0
	v_cndmask_b32_e64 v62, v62, 1.0, vcc_lo
	s_delay_alu instid0(VALU_DEP_2) | instskip(NEXT) | instid1(VALU_DEP_1)
	v_mul_f32_e32 v63, s30, v63
	v_fmac_f32_e32 v168, v62, v63
	s_clause 0x1
	scratch_load_b32 v62, off, off offset:3376
	scratch_load_b32 v63, off, off offset:3380
	s_wait_loadcnt 0x2
	v_sub_f32_e32 v64, v64, v178
	s_wait_loadcnt 0x0
	v_dual_sub_f32 v62, v62, v176 :: v_dual_sub_f32 v63, v63, v177
	s_delay_alu instid0(VALU_DEP_1) | instskip(NEXT) | instid1(VALU_DEP_1)
	v_mul_f32_e32 v63, v63, v63
	v_fmac_f32_e32 v63, v62, v62
	s_delay_alu instid0(VALU_DEP_1) | instskip(NEXT) | instid1(VALU_DEP_1)
	v_fmac_f32_e32 v63, v64, v64
	v_cmp_gt_f32_e32 vcc_lo, 0xf800000, v63
	v_mul_f32_e32 v62, 0x4f800000, v63
	s_wait_alu 0xfffd
	s_delay_alu instid0(VALU_DEP_1) | instskip(NEXT) | instid1(VALU_DEP_1)
	v_cndmask_b32_e32 v62, v63, v62, vcc_lo
	v_sqrt_f32_e32 v63, v62
	s_delay_alu instid0(TRANS32_DEP_1) | instskip(NEXT) | instid1(VALU_DEP_1)
	v_add_nc_u32_e32 v64, -1, v63
	v_fma_f32 v65, -v64, v63, v62
	s_delay_alu instid0(VALU_DEP_1) | instskip(SKIP_2) | instid1(VALU_DEP_2)
	v_cmp_ge_f32_e64 s0, 0, v65
	v_add_nc_u32_e32 v65, 1, v63
	s_wait_alu 0xf1ff
	v_cndmask_b32_e64 v64, v63, v64, s0
	s_delay_alu instid0(VALU_DEP_2) | instskip(NEXT) | instid1(VALU_DEP_1)
	v_fma_f32 v63, -v65, v63, v62
	v_cmp_lt_f32_e64 s0, 0, v63
	s_wait_alu 0xf1ff
	s_delay_alu instid0(VALU_DEP_1) | instskip(NEXT) | instid1(VALU_DEP_1)
	v_cndmask_b32_e64 v63, v64, v65, s0
	v_mul_f32_e32 v64, 0x37800000, v63
	s_delay_alu instid0(VALU_DEP_1) | instskip(SKIP_2) | instid1(VALU_DEP_2)
	v_cndmask_b32_e32 v63, v63, v64, vcc_lo
	v_cmp_class_f32_e64 vcc_lo, v62, 0x260
	s_wait_alu 0xfffd
	v_cndmask_b32_e32 v62, v63, v62, vcc_lo
	s_delay_alu instid0(VALU_DEP_1) | instskip(SKIP_1) | instid1(VALU_DEP_2)
	v_sub_f32_e32 v63, v62, v179
	v_fma_f32 v62, -v61, v62, 1.0
	v_cmp_gt_f32_e32 vcc_lo, 0, v63
	v_cmp_gt_f32_e64 s0, s29, v63
	s_wait_alu 0xfffd
	v_cndmask_b32_e64 v64, 0, 0x42980000, vcc_lo
	s_delay_alu instid0(VALU_DEP_1) | instskip(SKIP_4) | instid1(VALU_DEP_3)
	v_fmac_f32_e32 v169, v62, v64
	v_fma_f32 v62, -s31, v63, 1.0
	s_wait_alu 0xf1ff
	v_cndmask_b32_e64 v64, 0, 1.0, s0
	v_cmp_gt_f32_e64 s0, s28, v63
	v_cndmask_b32_e64 v62, v62, 1.0, vcc_lo
	s_and_b32 s0, s26, s0
	s_delay_alu instid0(VALU_DEP_1) | instskip(SKIP_2) | instid1(VALU_DEP_1)
	v_mul_f32_e32 v62, v64, v62
	scratch_load_b32 v64, off, off offset:3396 ; 4-byte Folded Reload
	v_mul_f32_e32 v62, v134, v62
	v_cndmask_b32_e64 v62, v62, -|v62|, s27
	s_delay_alu instid0(VALU_DEP_1) | instskip(SKIP_3) | instid1(VALU_DEP_2)
	v_fmac_f32_e32 v169, 0x42340000, v62
	v_fma_f32 v62, -v132, v63, 1.0
	s_wait_alu 0xfffe
	v_cndmask_b32_e64 v63, 0, 1.0, s0
	v_cndmask_b32_e64 v62, v62, 1.0, vcc_lo
	s_delay_alu instid0(VALU_DEP_2) | instskip(NEXT) | instid1(VALU_DEP_1)
	v_mul_f32_e32 v63, s30, v63
	v_fmac_f32_e32 v169, v62, v63
	s_clause 0x1
	scratch_load_b32 v62, off, off offset:3388
	scratch_load_b32 v63, off, off offset:3392
	s_wait_loadcnt 0x2
	v_sub_f32_e32 v64, v64, v178
	s_wait_loadcnt 0x0
	v_dual_sub_f32 v62, v62, v176 :: v_dual_sub_f32 v63, v63, v177
	s_delay_alu instid0(VALU_DEP_1) | instskip(NEXT) | instid1(VALU_DEP_1)
	v_mul_f32_e32 v63, v63, v63
	v_fmac_f32_e32 v63, v62, v62
	s_delay_alu instid0(VALU_DEP_1) | instskip(NEXT) | instid1(VALU_DEP_1)
	v_fmac_f32_e32 v63, v64, v64
	v_cmp_gt_f32_e32 vcc_lo, 0xf800000, v63
	v_mul_f32_e32 v62, 0x4f800000, v63
	s_wait_alu 0xfffd
	s_delay_alu instid0(VALU_DEP_1) | instskip(NEXT) | instid1(VALU_DEP_1)
	v_cndmask_b32_e32 v62, v63, v62, vcc_lo
	v_sqrt_f32_e32 v63, v62
	s_delay_alu instid0(TRANS32_DEP_1) | instskip(NEXT) | instid1(VALU_DEP_1)
	v_add_nc_u32_e32 v64, -1, v63
	v_fma_f32 v65, -v64, v63, v62
	s_delay_alu instid0(VALU_DEP_1) | instskip(SKIP_2) | instid1(VALU_DEP_2)
	v_cmp_ge_f32_e64 s0, 0, v65
	v_add_nc_u32_e32 v65, 1, v63
	s_wait_alu 0xf1ff
	v_cndmask_b32_e64 v64, v63, v64, s0
	s_delay_alu instid0(VALU_DEP_2) | instskip(NEXT) | instid1(VALU_DEP_1)
	v_fma_f32 v63, -v65, v63, v62
	v_cmp_lt_f32_e64 s0, 0, v63
	s_wait_alu 0xf1ff
	s_delay_alu instid0(VALU_DEP_1) | instskip(NEXT) | instid1(VALU_DEP_1)
	v_cndmask_b32_e64 v63, v64, v65, s0
	v_mul_f32_e32 v64, 0x37800000, v63
	s_delay_alu instid0(VALU_DEP_1) | instskip(SKIP_2) | instid1(VALU_DEP_2)
	v_cndmask_b32_e32 v63, v63, v64, vcc_lo
	v_cmp_class_f32_e64 vcc_lo, v62, 0x260
	s_wait_alu 0xfffd
	v_cndmask_b32_e32 v62, v63, v62, vcc_lo
	s_delay_alu instid0(VALU_DEP_1) | instskip(SKIP_1) | instid1(VALU_DEP_2)
	v_sub_f32_e32 v63, v62, v179
	v_fma_f32 v62, -v61, v62, 1.0
	v_cmp_gt_f32_e32 vcc_lo, 0, v63
	v_cmp_gt_f32_e64 s0, s29, v63
	s_wait_alu 0xfffd
	v_cndmask_b32_e64 v64, 0, 0x42980000, vcc_lo
	s_delay_alu instid0(VALU_DEP_1) | instskip(SKIP_4) | instid1(VALU_DEP_3)
	v_fmac_f32_e32 v170, v62, v64
	v_fma_f32 v62, -s31, v63, 1.0
	s_wait_alu 0xf1ff
	v_cndmask_b32_e64 v64, 0, 1.0, s0
	v_cmp_gt_f32_e64 s0, s28, v63
	v_cndmask_b32_e64 v62, v62, 1.0, vcc_lo
	s_and_b32 s0, s26, s0
	s_delay_alu instid0(VALU_DEP_1) | instskip(SKIP_2) | instid1(VALU_DEP_1)
	v_mul_f32_e32 v62, v64, v62
	scratch_load_b32 v64, off, off offset:3408 ; 4-byte Folded Reload
	v_mul_f32_e32 v62, v134, v62
	v_cndmask_b32_e64 v62, v62, -|v62|, s27
	s_delay_alu instid0(VALU_DEP_1) | instskip(SKIP_3) | instid1(VALU_DEP_2)
	v_fmac_f32_e32 v170, 0x42340000, v62
	v_fma_f32 v62, -v132, v63, 1.0
	s_wait_alu 0xfffe
	v_cndmask_b32_e64 v63, 0, 1.0, s0
	v_cndmask_b32_e64 v62, v62, 1.0, vcc_lo
	s_delay_alu instid0(VALU_DEP_2) | instskip(NEXT) | instid1(VALU_DEP_1)
	v_mul_f32_e32 v63, s30, v63
	v_fmac_f32_e32 v170, v62, v63
	s_clause 0x1
	scratch_load_b32 v62, off, off offset:3400
	scratch_load_b32 v63, off, off offset:3404
	s_wait_loadcnt 0x2
	v_sub_f32_e32 v64, v64, v178
	s_wait_loadcnt 0x0
	v_dual_sub_f32 v62, v62, v176 :: v_dual_sub_f32 v63, v63, v177
	s_delay_alu instid0(VALU_DEP_1) | instskip(NEXT) | instid1(VALU_DEP_1)
	v_mul_f32_e32 v63, v63, v63
	v_fmac_f32_e32 v63, v62, v62
	s_delay_alu instid0(VALU_DEP_1) | instskip(NEXT) | instid1(VALU_DEP_1)
	v_fmac_f32_e32 v63, v64, v64
	v_cmp_gt_f32_e32 vcc_lo, 0xf800000, v63
	v_mul_f32_e32 v62, 0x4f800000, v63
	s_wait_alu 0xfffd
	s_delay_alu instid0(VALU_DEP_1) | instskip(NEXT) | instid1(VALU_DEP_1)
	v_cndmask_b32_e32 v62, v63, v62, vcc_lo
	v_sqrt_f32_e32 v63, v62
	s_delay_alu instid0(TRANS32_DEP_1) | instskip(NEXT) | instid1(VALU_DEP_1)
	v_add_nc_u32_e32 v64, -1, v63
	v_fma_f32 v65, -v64, v63, v62
	s_delay_alu instid0(VALU_DEP_1) | instskip(SKIP_2) | instid1(VALU_DEP_2)
	v_cmp_ge_f32_e64 s0, 0, v65
	v_add_nc_u32_e32 v65, 1, v63
	s_wait_alu 0xf1ff
	v_cndmask_b32_e64 v64, v63, v64, s0
	s_delay_alu instid0(VALU_DEP_2) | instskip(NEXT) | instid1(VALU_DEP_1)
	v_fma_f32 v63, -v65, v63, v62
	v_cmp_lt_f32_e64 s0, 0, v63
	s_wait_alu 0xf1ff
	s_delay_alu instid0(VALU_DEP_1) | instskip(NEXT) | instid1(VALU_DEP_1)
	v_cndmask_b32_e64 v63, v64, v65, s0
	v_mul_f32_e32 v64, 0x37800000, v63
	s_delay_alu instid0(VALU_DEP_1) | instskip(SKIP_2) | instid1(VALU_DEP_2)
	v_cndmask_b32_e32 v63, v63, v64, vcc_lo
	v_cmp_class_f32_e64 vcc_lo, v62, 0x260
	s_wait_alu 0xfffd
	v_cndmask_b32_e32 v62, v63, v62, vcc_lo
	s_delay_alu instid0(VALU_DEP_1) | instskip(SKIP_1) | instid1(VALU_DEP_2)
	v_sub_f32_e32 v63, v62, v179
	v_fma_f32 v62, -v61, v62, 1.0
	v_cmp_gt_f32_e32 vcc_lo, 0, v63
	v_cmp_gt_f32_e64 s0, s29, v63
	s_wait_alu 0xfffd
	v_cndmask_b32_e64 v64, 0, 0x42980000, vcc_lo
	s_delay_alu instid0(VALU_DEP_1) | instskip(SKIP_4) | instid1(VALU_DEP_3)
	v_fmac_f32_e32 v171, v62, v64
	v_fma_f32 v62, -s31, v63, 1.0
	s_wait_alu 0xf1ff
	v_cndmask_b32_e64 v64, 0, 1.0, s0
	v_cmp_gt_f32_e64 s0, s28, v63
	v_cndmask_b32_e64 v62, v62, 1.0, vcc_lo
	s_and_b32 s0, s26, s0
	s_delay_alu instid0(VALU_DEP_1) | instskip(SKIP_2) | instid1(VALU_DEP_1)
	v_mul_f32_e32 v62, v64, v62
	scratch_load_b32 v64, off, off offset:3420 ; 4-byte Folded Reload
	v_mul_f32_e32 v62, v134, v62
	v_cndmask_b32_e64 v62, v62, -|v62|, s27
	s_delay_alu instid0(VALU_DEP_1) | instskip(SKIP_3) | instid1(VALU_DEP_2)
	v_fmac_f32_e32 v171, 0x42340000, v62
	v_fma_f32 v62, -v132, v63, 1.0
	s_wait_alu 0xfffe
	v_cndmask_b32_e64 v63, 0, 1.0, s0
	v_cndmask_b32_e64 v62, v62, 1.0, vcc_lo
	s_delay_alu instid0(VALU_DEP_2) | instskip(NEXT) | instid1(VALU_DEP_1)
	v_mul_f32_e32 v63, s30, v63
	v_fmac_f32_e32 v171, v62, v63
	s_clause 0x1
	scratch_load_b32 v62, off, off offset:3412
	scratch_load_b32 v63, off, off offset:3416
	s_wait_loadcnt 0x2
	v_sub_f32_e32 v64, v64, v178
	s_wait_loadcnt 0x0
	v_dual_sub_f32 v62, v62, v176 :: v_dual_sub_f32 v63, v63, v177
	s_delay_alu instid0(VALU_DEP_1) | instskip(NEXT) | instid1(VALU_DEP_1)
	v_mul_f32_e32 v63, v63, v63
	v_fmac_f32_e32 v63, v62, v62
	s_delay_alu instid0(VALU_DEP_1) | instskip(NEXT) | instid1(VALU_DEP_1)
	v_fmac_f32_e32 v63, v64, v64
	v_cmp_gt_f32_e32 vcc_lo, 0xf800000, v63
	v_mul_f32_e32 v62, 0x4f800000, v63
	s_wait_alu 0xfffd
	s_delay_alu instid0(VALU_DEP_1) | instskip(NEXT) | instid1(VALU_DEP_1)
	v_cndmask_b32_e32 v62, v63, v62, vcc_lo
	v_sqrt_f32_e32 v63, v62
	s_delay_alu instid0(TRANS32_DEP_1) | instskip(NEXT) | instid1(VALU_DEP_1)
	v_add_nc_u32_e32 v64, -1, v63
	v_fma_f32 v65, -v64, v63, v62
	s_delay_alu instid0(VALU_DEP_1) | instskip(SKIP_2) | instid1(VALU_DEP_2)
	v_cmp_ge_f32_e64 s0, 0, v65
	v_add_nc_u32_e32 v65, 1, v63
	s_wait_alu 0xf1ff
	v_cndmask_b32_e64 v64, v63, v64, s0
	s_delay_alu instid0(VALU_DEP_2) | instskip(NEXT) | instid1(VALU_DEP_1)
	v_fma_f32 v63, -v65, v63, v62
	v_cmp_lt_f32_e64 s0, 0, v63
	s_wait_alu 0xf1ff
	s_delay_alu instid0(VALU_DEP_1) | instskip(NEXT) | instid1(VALU_DEP_1)
	v_cndmask_b32_e64 v63, v64, v65, s0
	v_mul_f32_e32 v64, 0x37800000, v63
	s_delay_alu instid0(VALU_DEP_1) | instskip(SKIP_2) | instid1(VALU_DEP_2)
	v_cndmask_b32_e32 v63, v63, v64, vcc_lo
	v_cmp_class_f32_e64 vcc_lo, v62, 0x260
	s_wait_alu 0xfffd
	v_cndmask_b32_e32 v62, v63, v62, vcc_lo
	s_delay_alu instid0(VALU_DEP_1) | instskip(SKIP_1) | instid1(VALU_DEP_2)
	v_sub_f32_e32 v63, v62, v179
	v_fma_f32 v62, -v61, v62, 1.0
	v_cmp_gt_f32_e32 vcc_lo, 0, v63
	v_cmp_gt_f32_e64 s0, s29, v63
	s_wait_alu 0xfffd
	v_cndmask_b32_e64 v64, 0, 0x42980000, vcc_lo
	s_delay_alu instid0(VALU_DEP_1) | instskip(SKIP_4) | instid1(VALU_DEP_3)
	v_fmac_f32_e32 v164, v62, v64
	v_fma_f32 v62, -s31, v63, 1.0
	s_wait_alu 0xf1ff
	v_cndmask_b32_e64 v64, 0, 1.0, s0
	v_cmp_gt_f32_e64 s0, s28, v63
	v_cndmask_b32_e64 v62, v62, 1.0, vcc_lo
	s_and_b32 s0, s26, s0
	s_delay_alu instid0(VALU_DEP_1) | instskip(SKIP_2) | instid1(VALU_DEP_1)
	v_mul_f32_e32 v62, v64, v62
	scratch_load_b32 v64, off, off offset:3432 ; 4-byte Folded Reload
	v_mul_f32_e32 v62, v134, v62
	v_cndmask_b32_e64 v62, v62, -|v62|, s27
	s_delay_alu instid0(VALU_DEP_1) | instskip(SKIP_3) | instid1(VALU_DEP_2)
	v_fmac_f32_e32 v164, 0x42340000, v62
	v_fma_f32 v62, -v132, v63, 1.0
	s_wait_alu 0xfffe
	v_cndmask_b32_e64 v63, 0, 1.0, s0
	v_cndmask_b32_e64 v62, v62, 1.0, vcc_lo
	s_delay_alu instid0(VALU_DEP_2) | instskip(NEXT) | instid1(VALU_DEP_1)
	v_mul_f32_e32 v63, s30, v63
	v_fmac_f32_e32 v164, v62, v63
	s_clause 0x1
	scratch_load_b32 v62, off, off offset:3424
	scratch_load_b32 v63, off, off offset:3428
	s_wait_loadcnt 0x2
	v_sub_f32_e32 v64, v64, v178
	s_wait_loadcnt 0x0
	v_dual_sub_f32 v62, v62, v176 :: v_dual_sub_f32 v63, v63, v177
	s_delay_alu instid0(VALU_DEP_1) | instskip(NEXT) | instid1(VALU_DEP_1)
	v_mul_f32_e32 v63, v63, v63
	v_fmac_f32_e32 v63, v62, v62
	s_delay_alu instid0(VALU_DEP_1) | instskip(NEXT) | instid1(VALU_DEP_1)
	v_fmac_f32_e32 v63, v64, v64
	v_cmp_gt_f32_e32 vcc_lo, 0xf800000, v63
	v_mul_f32_e32 v62, 0x4f800000, v63
	s_wait_alu 0xfffd
	s_delay_alu instid0(VALU_DEP_1) | instskip(NEXT) | instid1(VALU_DEP_1)
	v_cndmask_b32_e32 v62, v63, v62, vcc_lo
	v_sqrt_f32_e32 v63, v62
	s_delay_alu instid0(TRANS32_DEP_1) | instskip(NEXT) | instid1(VALU_DEP_1)
	v_add_nc_u32_e32 v64, -1, v63
	v_fma_f32 v65, -v64, v63, v62
	s_delay_alu instid0(VALU_DEP_1) | instskip(SKIP_2) | instid1(VALU_DEP_2)
	v_cmp_ge_f32_e64 s0, 0, v65
	v_add_nc_u32_e32 v65, 1, v63
	s_wait_alu 0xf1ff
	v_cndmask_b32_e64 v64, v63, v64, s0
	s_delay_alu instid0(VALU_DEP_2) | instskip(NEXT) | instid1(VALU_DEP_1)
	v_fma_f32 v63, -v65, v63, v62
	v_cmp_lt_f32_e64 s0, 0, v63
	s_wait_alu 0xf1ff
	s_delay_alu instid0(VALU_DEP_1) | instskip(NEXT) | instid1(VALU_DEP_1)
	v_cndmask_b32_e64 v63, v64, v65, s0
	v_mul_f32_e32 v64, 0x37800000, v63
	s_delay_alu instid0(VALU_DEP_1) | instskip(SKIP_2) | instid1(VALU_DEP_2)
	v_cndmask_b32_e32 v63, v63, v64, vcc_lo
	v_cmp_class_f32_e64 vcc_lo, v62, 0x260
	s_wait_alu 0xfffd
	v_cndmask_b32_e32 v62, v63, v62, vcc_lo
	s_delay_alu instid0(VALU_DEP_1) | instskip(SKIP_1) | instid1(VALU_DEP_2)
	v_sub_f32_e32 v63, v62, v179
	v_fma_f32 v62, -v61, v62, 1.0
	v_cmp_gt_f32_e32 vcc_lo, 0, v63
	v_cmp_gt_f32_e64 s0, s29, v63
	s_wait_alu 0xfffd
	v_cndmask_b32_e64 v64, 0, 0x42980000, vcc_lo
	s_delay_alu instid0(VALU_DEP_1) | instskip(SKIP_4) | instid1(VALU_DEP_3)
	v_fmac_f32_e32 v165, v62, v64
	v_fma_f32 v62, -s31, v63, 1.0
	s_wait_alu 0xf1ff
	v_cndmask_b32_e64 v64, 0, 1.0, s0
	v_cmp_gt_f32_e64 s0, s28, v63
	v_cndmask_b32_e64 v62, v62, 1.0, vcc_lo
	s_and_b32 s0, s26, s0
	s_delay_alu instid0(VALU_DEP_1) | instskip(SKIP_2) | instid1(VALU_DEP_1)
	v_mul_f32_e32 v62, v64, v62
	scratch_load_b32 v64, off, off offset:3444 ; 4-byte Folded Reload
	v_mul_f32_e32 v62, v134, v62
	v_cndmask_b32_e64 v62, v62, -|v62|, s27
	s_delay_alu instid0(VALU_DEP_1) | instskip(SKIP_3) | instid1(VALU_DEP_2)
	v_fmac_f32_e32 v165, 0x42340000, v62
	v_fma_f32 v62, -v132, v63, 1.0
	s_wait_alu 0xfffe
	v_cndmask_b32_e64 v63, 0, 1.0, s0
	v_cndmask_b32_e64 v62, v62, 1.0, vcc_lo
	s_delay_alu instid0(VALU_DEP_2) | instskip(NEXT) | instid1(VALU_DEP_1)
	v_mul_f32_e32 v63, s30, v63
	v_fmac_f32_e32 v165, v62, v63
	s_clause 0x1
	scratch_load_b32 v62, off, off offset:3436
	scratch_load_b32 v63, off, off offset:3440
	s_wait_loadcnt 0x2
	v_sub_f32_e32 v64, v64, v178
	s_wait_loadcnt 0x0
	v_dual_sub_f32 v62, v62, v176 :: v_dual_sub_f32 v63, v63, v177
	s_delay_alu instid0(VALU_DEP_1) | instskip(NEXT) | instid1(VALU_DEP_1)
	v_mul_f32_e32 v63, v63, v63
	v_fmac_f32_e32 v63, v62, v62
	s_delay_alu instid0(VALU_DEP_1) | instskip(NEXT) | instid1(VALU_DEP_1)
	v_fmac_f32_e32 v63, v64, v64
	v_cmp_gt_f32_e32 vcc_lo, 0xf800000, v63
	v_mul_f32_e32 v62, 0x4f800000, v63
	s_wait_alu 0xfffd
	s_delay_alu instid0(VALU_DEP_1) | instskip(NEXT) | instid1(VALU_DEP_1)
	v_cndmask_b32_e32 v62, v63, v62, vcc_lo
	v_sqrt_f32_e32 v63, v62
	s_delay_alu instid0(TRANS32_DEP_1) | instskip(NEXT) | instid1(VALU_DEP_1)
	v_add_nc_u32_e32 v64, -1, v63
	v_fma_f32 v65, -v64, v63, v62
	s_delay_alu instid0(VALU_DEP_1) | instskip(SKIP_2) | instid1(VALU_DEP_2)
	v_cmp_ge_f32_e64 s0, 0, v65
	v_add_nc_u32_e32 v65, 1, v63
	s_wait_alu 0xf1ff
	v_cndmask_b32_e64 v64, v63, v64, s0
	s_delay_alu instid0(VALU_DEP_2) | instskip(NEXT) | instid1(VALU_DEP_1)
	v_fma_f32 v63, -v65, v63, v62
	v_cmp_lt_f32_e64 s0, 0, v63
	s_wait_alu 0xf1ff
	s_delay_alu instid0(VALU_DEP_1) | instskip(NEXT) | instid1(VALU_DEP_1)
	v_cndmask_b32_e64 v63, v64, v65, s0
	v_mul_f32_e32 v64, 0x37800000, v63
	s_delay_alu instid0(VALU_DEP_1) | instskip(SKIP_2) | instid1(VALU_DEP_2)
	v_cndmask_b32_e32 v63, v63, v64, vcc_lo
	v_cmp_class_f32_e64 vcc_lo, v62, 0x260
	s_wait_alu 0xfffd
	v_cndmask_b32_e32 v62, v63, v62, vcc_lo
	s_delay_alu instid0(VALU_DEP_1) | instskip(SKIP_1) | instid1(VALU_DEP_2)
	v_sub_f32_e32 v63, v62, v179
	v_fma_f32 v62, -v61, v62, 1.0
	v_cmp_gt_f32_e32 vcc_lo, 0, v63
	v_cmp_gt_f32_e64 s0, s29, v63
	s_wait_alu 0xfffd
	v_cndmask_b32_e64 v64, 0, 0x42980000, vcc_lo
	s_delay_alu instid0(VALU_DEP_1) | instskip(SKIP_4) | instid1(VALU_DEP_3)
	v_fmac_f32_e32 v166, v62, v64
	v_fma_f32 v62, -s31, v63, 1.0
	s_wait_alu 0xf1ff
	v_cndmask_b32_e64 v64, 0, 1.0, s0
	v_cmp_gt_f32_e64 s0, s28, v63
	v_cndmask_b32_e64 v62, v62, 1.0, vcc_lo
	s_and_b32 s0, s26, s0
	s_delay_alu instid0(VALU_DEP_1) | instskip(SKIP_2) | instid1(VALU_DEP_1)
	v_mul_f32_e32 v62, v64, v62
	scratch_load_b32 v64, off, off offset:3456 ; 4-byte Folded Reload
	v_mul_f32_e32 v62, v134, v62
	v_cndmask_b32_e64 v62, v62, -|v62|, s27
	s_delay_alu instid0(VALU_DEP_1) | instskip(SKIP_3) | instid1(VALU_DEP_2)
	v_fmac_f32_e32 v166, 0x42340000, v62
	v_fma_f32 v62, -v132, v63, 1.0
	s_wait_alu 0xfffe
	v_cndmask_b32_e64 v63, 0, 1.0, s0
	v_cndmask_b32_e64 v62, v62, 1.0, vcc_lo
	s_delay_alu instid0(VALU_DEP_2) | instskip(NEXT) | instid1(VALU_DEP_1)
	v_mul_f32_e32 v63, s30, v63
	v_fmac_f32_e32 v166, v62, v63
	s_clause 0x1
	scratch_load_b32 v62, off, off offset:3448
	scratch_load_b32 v63, off, off offset:3452
	s_wait_loadcnt 0x2
	v_sub_f32_e32 v64, v64, v178
	s_wait_loadcnt 0x0
	v_dual_sub_f32 v62, v62, v176 :: v_dual_sub_f32 v63, v63, v177
	s_delay_alu instid0(VALU_DEP_1) | instskip(NEXT) | instid1(VALU_DEP_1)
	v_mul_f32_e32 v63, v63, v63
	v_fmac_f32_e32 v63, v62, v62
	s_delay_alu instid0(VALU_DEP_1) | instskip(NEXT) | instid1(VALU_DEP_1)
	v_fmac_f32_e32 v63, v64, v64
	v_cmp_gt_f32_e32 vcc_lo, 0xf800000, v63
	v_mul_f32_e32 v62, 0x4f800000, v63
	s_wait_alu 0xfffd
	s_delay_alu instid0(VALU_DEP_1) | instskip(NEXT) | instid1(VALU_DEP_1)
	v_cndmask_b32_e32 v62, v63, v62, vcc_lo
	v_sqrt_f32_e32 v63, v62
	s_delay_alu instid0(TRANS32_DEP_1) | instskip(NEXT) | instid1(VALU_DEP_1)
	v_add_nc_u32_e32 v64, -1, v63
	v_fma_f32 v65, -v64, v63, v62
	s_delay_alu instid0(VALU_DEP_1) | instskip(SKIP_2) | instid1(VALU_DEP_2)
	v_cmp_ge_f32_e64 s0, 0, v65
	v_add_nc_u32_e32 v65, 1, v63
	s_wait_alu 0xf1ff
	v_cndmask_b32_e64 v64, v63, v64, s0
	s_delay_alu instid0(VALU_DEP_2) | instskip(NEXT) | instid1(VALU_DEP_1)
	v_fma_f32 v63, -v65, v63, v62
	v_cmp_lt_f32_e64 s0, 0, v63
	s_wait_alu 0xf1ff
	s_delay_alu instid0(VALU_DEP_1) | instskip(NEXT) | instid1(VALU_DEP_1)
	v_cndmask_b32_e64 v63, v64, v65, s0
	v_mul_f32_e32 v64, 0x37800000, v63
	s_delay_alu instid0(VALU_DEP_1) | instskip(SKIP_2) | instid1(VALU_DEP_2)
	v_cndmask_b32_e32 v63, v63, v64, vcc_lo
	v_cmp_class_f32_e64 vcc_lo, v62, 0x260
	s_wait_alu 0xfffd
	v_cndmask_b32_e32 v62, v63, v62, vcc_lo
	s_delay_alu instid0(VALU_DEP_1) | instskip(SKIP_1) | instid1(VALU_DEP_2)
	v_sub_f32_e32 v63, v62, v179
	v_fma_f32 v62, -v61, v62, 1.0
	v_cmp_gt_f32_e32 vcc_lo, 0, v63
	v_cmp_gt_f32_e64 s0, s29, v63
	s_wait_alu 0xfffd
	v_cndmask_b32_e64 v64, 0, 0x42980000, vcc_lo
	s_delay_alu instid0(VALU_DEP_1) | instskip(SKIP_4) | instid1(VALU_DEP_3)
	v_fmac_f32_e32 v167, v62, v64
	v_fma_f32 v62, -s31, v63, 1.0
	s_wait_alu 0xf1ff
	v_cndmask_b32_e64 v64, 0, 1.0, s0
	v_cmp_gt_f32_e64 s0, s28, v63
	v_cndmask_b32_e64 v62, v62, 1.0, vcc_lo
	s_and_b32 s0, s26, s0
	s_delay_alu instid0(VALU_DEP_1) | instskip(SKIP_2) | instid1(VALU_DEP_1)
	v_mul_f32_e32 v62, v64, v62
	scratch_load_b32 v64, off, off offset:3468 ; 4-byte Folded Reload
	v_mul_f32_e32 v62, v134, v62
	v_cndmask_b32_e64 v62, v62, -|v62|, s27
	s_delay_alu instid0(VALU_DEP_1) | instskip(SKIP_3) | instid1(VALU_DEP_2)
	v_fmac_f32_e32 v167, 0x42340000, v62
	v_fma_f32 v62, -v132, v63, 1.0
	s_wait_alu 0xfffe
	v_cndmask_b32_e64 v63, 0, 1.0, s0
	v_cndmask_b32_e64 v62, v62, 1.0, vcc_lo
	s_delay_alu instid0(VALU_DEP_2) | instskip(NEXT) | instid1(VALU_DEP_1)
	v_mul_f32_e32 v63, s30, v63
	v_fmac_f32_e32 v167, v62, v63
	s_clause 0x1
	scratch_load_b32 v62, off, off offset:3460
	scratch_load_b32 v63, off, off offset:3464
	s_wait_loadcnt 0x2
	v_sub_f32_e32 v64, v64, v178
	s_wait_loadcnt 0x0
	v_dual_sub_f32 v62, v62, v176 :: v_dual_sub_f32 v63, v63, v177
	s_delay_alu instid0(VALU_DEP_1) | instskip(NEXT) | instid1(VALU_DEP_1)
	v_mul_f32_e32 v63, v63, v63
	v_fmac_f32_e32 v63, v62, v62
	s_delay_alu instid0(VALU_DEP_1) | instskip(NEXT) | instid1(VALU_DEP_1)
	v_fmac_f32_e32 v63, v64, v64
	v_cmp_gt_f32_e32 vcc_lo, 0xf800000, v63
	v_mul_f32_e32 v62, 0x4f800000, v63
	s_wait_alu 0xfffd
	s_delay_alu instid0(VALU_DEP_1) | instskip(NEXT) | instid1(VALU_DEP_1)
	v_cndmask_b32_e32 v62, v63, v62, vcc_lo
	v_sqrt_f32_e32 v63, v62
	s_delay_alu instid0(TRANS32_DEP_1) | instskip(NEXT) | instid1(VALU_DEP_1)
	v_add_nc_u32_e32 v64, -1, v63
	v_fma_f32 v65, -v64, v63, v62
	s_delay_alu instid0(VALU_DEP_1) | instskip(SKIP_2) | instid1(VALU_DEP_2)
	v_cmp_ge_f32_e64 s0, 0, v65
	v_add_nc_u32_e32 v65, 1, v63
	s_wait_alu 0xf1ff
	v_cndmask_b32_e64 v64, v63, v64, s0
	s_delay_alu instid0(VALU_DEP_2) | instskip(NEXT) | instid1(VALU_DEP_1)
	v_fma_f32 v63, -v65, v63, v62
	v_cmp_lt_f32_e64 s0, 0, v63
	s_wait_alu 0xf1ff
	s_delay_alu instid0(VALU_DEP_1) | instskip(NEXT) | instid1(VALU_DEP_1)
	v_cndmask_b32_e64 v63, v64, v65, s0
	v_mul_f32_e32 v64, 0x37800000, v63
	s_delay_alu instid0(VALU_DEP_1) | instskip(SKIP_2) | instid1(VALU_DEP_2)
	v_cndmask_b32_e32 v63, v63, v64, vcc_lo
	v_cmp_class_f32_e64 vcc_lo, v62, 0x260
	s_wait_alu 0xfffd
	v_cndmask_b32_e32 v62, v63, v62, vcc_lo
	s_delay_alu instid0(VALU_DEP_1) | instskip(SKIP_1) | instid1(VALU_DEP_2)
	v_sub_f32_e32 v63, v62, v179
	v_fma_f32 v62, -v61, v62, 1.0
	v_cmp_gt_f32_e32 vcc_lo, 0, v63
	v_cmp_gt_f32_e64 s0, s29, v63
	s_wait_alu 0xfffd
	v_cndmask_b32_e64 v64, 0, 0x42980000, vcc_lo
	s_delay_alu instid0(VALU_DEP_1) | instskip(SKIP_4) | instid1(VALU_DEP_3)
	v_fmac_f32_e32 v160, v62, v64
	v_fma_f32 v62, -s31, v63, 1.0
	s_wait_alu 0xf1ff
	v_cndmask_b32_e64 v64, 0, 1.0, s0
	v_cmp_gt_f32_e64 s0, s28, v63
	v_cndmask_b32_e64 v62, v62, 1.0, vcc_lo
	s_and_b32 s0, s26, s0
	s_delay_alu instid0(VALU_DEP_1) | instskip(SKIP_2) | instid1(VALU_DEP_1)
	v_mul_f32_e32 v62, v64, v62
	scratch_load_b32 v64, off, off offset:3480 ; 4-byte Folded Reload
	v_mul_f32_e32 v62, v134, v62
	v_cndmask_b32_e64 v62, v62, -|v62|, s27
	s_delay_alu instid0(VALU_DEP_1) | instskip(SKIP_3) | instid1(VALU_DEP_2)
	v_fmac_f32_e32 v160, 0x42340000, v62
	v_fma_f32 v62, -v132, v63, 1.0
	s_wait_alu 0xfffe
	v_cndmask_b32_e64 v63, 0, 1.0, s0
	v_cndmask_b32_e64 v62, v62, 1.0, vcc_lo
	s_delay_alu instid0(VALU_DEP_2) | instskip(NEXT) | instid1(VALU_DEP_1)
	v_mul_f32_e32 v63, s30, v63
	v_fmac_f32_e32 v160, v62, v63
	s_clause 0x1
	scratch_load_b32 v62, off, off offset:3472
	scratch_load_b32 v63, off, off offset:3476
	s_wait_loadcnt 0x2
	v_sub_f32_e32 v64, v64, v178
	s_wait_loadcnt 0x0
	v_dual_sub_f32 v62, v62, v176 :: v_dual_sub_f32 v63, v63, v177
	s_delay_alu instid0(VALU_DEP_1) | instskip(NEXT) | instid1(VALU_DEP_1)
	v_mul_f32_e32 v63, v63, v63
	v_fmac_f32_e32 v63, v62, v62
	s_delay_alu instid0(VALU_DEP_1) | instskip(NEXT) | instid1(VALU_DEP_1)
	v_fmac_f32_e32 v63, v64, v64
	v_cmp_gt_f32_e32 vcc_lo, 0xf800000, v63
	v_mul_f32_e32 v62, 0x4f800000, v63
	s_wait_alu 0xfffd
	s_delay_alu instid0(VALU_DEP_1) | instskip(NEXT) | instid1(VALU_DEP_1)
	v_cndmask_b32_e32 v62, v63, v62, vcc_lo
	v_sqrt_f32_e32 v63, v62
	s_delay_alu instid0(TRANS32_DEP_1) | instskip(NEXT) | instid1(VALU_DEP_1)
	v_add_nc_u32_e32 v64, -1, v63
	v_fma_f32 v65, -v64, v63, v62
	s_delay_alu instid0(VALU_DEP_1) | instskip(SKIP_2) | instid1(VALU_DEP_2)
	v_cmp_ge_f32_e64 s0, 0, v65
	v_add_nc_u32_e32 v65, 1, v63
	s_wait_alu 0xf1ff
	v_cndmask_b32_e64 v64, v63, v64, s0
	s_delay_alu instid0(VALU_DEP_2) | instskip(NEXT) | instid1(VALU_DEP_1)
	v_fma_f32 v63, -v65, v63, v62
	v_cmp_lt_f32_e64 s0, 0, v63
	s_wait_alu 0xf1ff
	s_delay_alu instid0(VALU_DEP_1) | instskip(NEXT) | instid1(VALU_DEP_1)
	v_cndmask_b32_e64 v63, v64, v65, s0
	v_mul_f32_e32 v64, 0x37800000, v63
	s_delay_alu instid0(VALU_DEP_1) | instskip(SKIP_2) | instid1(VALU_DEP_2)
	v_cndmask_b32_e32 v63, v63, v64, vcc_lo
	v_cmp_class_f32_e64 vcc_lo, v62, 0x260
	s_wait_alu 0xfffd
	v_cndmask_b32_e32 v62, v63, v62, vcc_lo
	s_delay_alu instid0(VALU_DEP_1) | instskip(SKIP_1) | instid1(VALU_DEP_2)
	v_sub_f32_e32 v63, v62, v179
	v_fma_f32 v62, -v61, v62, 1.0
	v_cmp_gt_f32_e32 vcc_lo, 0, v63
	v_cmp_gt_f32_e64 s0, s29, v63
	s_wait_alu 0xfffd
	v_cndmask_b32_e64 v64, 0, 0x42980000, vcc_lo
	s_delay_alu instid0(VALU_DEP_1) | instskip(SKIP_4) | instid1(VALU_DEP_3)
	v_fmac_f32_e32 v161, v62, v64
	v_fma_f32 v62, -s31, v63, 1.0
	s_wait_alu 0xf1ff
	v_cndmask_b32_e64 v64, 0, 1.0, s0
	v_cmp_gt_f32_e64 s0, s28, v63
	v_cndmask_b32_e64 v62, v62, 1.0, vcc_lo
	s_and_b32 s0, s26, s0
	s_delay_alu instid0(VALU_DEP_1) | instskip(SKIP_2) | instid1(VALU_DEP_1)
	v_mul_f32_e32 v62, v64, v62
	scratch_load_b32 v64, off, off offset:3492 ; 4-byte Folded Reload
	v_mul_f32_e32 v62, v134, v62
	v_cndmask_b32_e64 v62, v62, -|v62|, s27
	s_delay_alu instid0(VALU_DEP_1) | instskip(SKIP_3) | instid1(VALU_DEP_2)
	v_fmac_f32_e32 v161, 0x42340000, v62
	v_fma_f32 v62, -v132, v63, 1.0
	s_wait_alu 0xfffe
	v_cndmask_b32_e64 v63, 0, 1.0, s0
	v_cndmask_b32_e64 v62, v62, 1.0, vcc_lo
	s_delay_alu instid0(VALU_DEP_2) | instskip(NEXT) | instid1(VALU_DEP_1)
	v_mul_f32_e32 v63, s30, v63
	v_fmac_f32_e32 v161, v62, v63
	s_clause 0x1
	scratch_load_b32 v62, off, off offset:3484
	scratch_load_b32 v63, off, off offset:3488
	s_wait_loadcnt 0x2
	v_sub_f32_e32 v64, v64, v178
	s_wait_loadcnt 0x0
	v_dual_sub_f32 v62, v62, v176 :: v_dual_sub_f32 v63, v63, v177
	s_delay_alu instid0(VALU_DEP_1) | instskip(NEXT) | instid1(VALU_DEP_1)
	v_mul_f32_e32 v63, v63, v63
	v_fmac_f32_e32 v63, v62, v62
	s_delay_alu instid0(VALU_DEP_1) | instskip(NEXT) | instid1(VALU_DEP_1)
	v_fmac_f32_e32 v63, v64, v64
	v_cmp_gt_f32_e32 vcc_lo, 0xf800000, v63
	v_mul_f32_e32 v62, 0x4f800000, v63
	s_wait_alu 0xfffd
	s_delay_alu instid0(VALU_DEP_1) | instskip(NEXT) | instid1(VALU_DEP_1)
	v_cndmask_b32_e32 v62, v63, v62, vcc_lo
	v_sqrt_f32_e32 v63, v62
	s_delay_alu instid0(TRANS32_DEP_1) | instskip(NEXT) | instid1(VALU_DEP_1)
	v_add_nc_u32_e32 v64, -1, v63
	v_fma_f32 v65, -v64, v63, v62
	s_delay_alu instid0(VALU_DEP_1) | instskip(SKIP_2) | instid1(VALU_DEP_2)
	v_cmp_ge_f32_e64 s0, 0, v65
	v_add_nc_u32_e32 v65, 1, v63
	s_wait_alu 0xf1ff
	v_cndmask_b32_e64 v64, v63, v64, s0
	s_delay_alu instid0(VALU_DEP_2) | instskip(NEXT) | instid1(VALU_DEP_1)
	v_fma_f32 v63, -v65, v63, v62
	v_cmp_lt_f32_e64 s0, 0, v63
	s_wait_alu 0xf1ff
	s_delay_alu instid0(VALU_DEP_1) | instskip(NEXT) | instid1(VALU_DEP_1)
	v_cndmask_b32_e64 v63, v64, v65, s0
	v_mul_f32_e32 v64, 0x37800000, v63
	s_delay_alu instid0(VALU_DEP_1) | instskip(SKIP_2) | instid1(VALU_DEP_2)
	v_cndmask_b32_e32 v63, v63, v64, vcc_lo
	v_cmp_class_f32_e64 vcc_lo, v62, 0x260
	s_wait_alu 0xfffd
	v_cndmask_b32_e32 v62, v63, v62, vcc_lo
	s_delay_alu instid0(VALU_DEP_1) | instskip(SKIP_1) | instid1(VALU_DEP_2)
	v_sub_f32_e32 v63, v62, v179
	v_fma_f32 v62, -v61, v62, 1.0
	v_cmp_gt_f32_e32 vcc_lo, 0, v63
	v_cmp_gt_f32_e64 s0, s29, v63
	s_wait_alu 0xfffd
	v_cndmask_b32_e64 v64, 0, 0x42980000, vcc_lo
	s_delay_alu instid0(VALU_DEP_1) | instskip(SKIP_4) | instid1(VALU_DEP_3)
	v_fmac_f32_e32 v162, v62, v64
	v_fma_f32 v62, -s31, v63, 1.0
	s_wait_alu 0xf1ff
	v_cndmask_b32_e64 v64, 0, 1.0, s0
	v_cmp_gt_f32_e64 s0, s28, v63
	v_cndmask_b32_e64 v62, v62, 1.0, vcc_lo
	s_and_b32 s0, s26, s0
	s_delay_alu instid0(VALU_DEP_1) | instskip(SKIP_2) | instid1(VALU_DEP_1)
	v_mul_f32_e32 v62, v64, v62
	scratch_load_b32 v64, off, off offset:3504 ; 4-byte Folded Reload
	v_mul_f32_e32 v62, v134, v62
	v_cndmask_b32_e64 v62, v62, -|v62|, s27
	s_delay_alu instid0(VALU_DEP_1) | instskip(SKIP_3) | instid1(VALU_DEP_2)
	v_fmac_f32_e32 v162, 0x42340000, v62
	v_fma_f32 v62, -v132, v63, 1.0
	s_wait_alu 0xfffe
	v_cndmask_b32_e64 v63, 0, 1.0, s0
	v_cndmask_b32_e64 v62, v62, 1.0, vcc_lo
	s_delay_alu instid0(VALU_DEP_2) | instskip(NEXT) | instid1(VALU_DEP_1)
	v_mul_f32_e32 v63, s30, v63
	v_fmac_f32_e32 v162, v62, v63
	s_clause 0x1
	scratch_load_b32 v62, off, off offset:3496
	scratch_load_b32 v63, off, off offset:3500
	s_wait_loadcnt 0x2
	v_sub_f32_e32 v64, v64, v178
	s_wait_loadcnt 0x0
	v_dual_sub_f32 v62, v62, v176 :: v_dual_sub_f32 v63, v63, v177
	s_delay_alu instid0(VALU_DEP_1) | instskip(NEXT) | instid1(VALU_DEP_1)
	v_mul_f32_e32 v63, v63, v63
	v_fmac_f32_e32 v63, v62, v62
	s_delay_alu instid0(VALU_DEP_1) | instskip(NEXT) | instid1(VALU_DEP_1)
	v_fmac_f32_e32 v63, v64, v64
	v_cmp_gt_f32_e32 vcc_lo, 0xf800000, v63
	v_mul_f32_e32 v62, 0x4f800000, v63
	s_wait_alu 0xfffd
	s_delay_alu instid0(VALU_DEP_1) | instskip(NEXT) | instid1(VALU_DEP_1)
	v_cndmask_b32_e32 v62, v63, v62, vcc_lo
	v_sqrt_f32_e32 v63, v62
	s_delay_alu instid0(TRANS32_DEP_1) | instskip(NEXT) | instid1(VALU_DEP_1)
	v_add_nc_u32_e32 v64, -1, v63
	v_fma_f32 v65, -v64, v63, v62
	s_delay_alu instid0(VALU_DEP_1) | instskip(SKIP_2) | instid1(VALU_DEP_2)
	v_cmp_ge_f32_e64 s0, 0, v65
	v_add_nc_u32_e32 v65, 1, v63
	s_wait_alu 0xf1ff
	v_cndmask_b32_e64 v64, v63, v64, s0
	s_delay_alu instid0(VALU_DEP_2) | instskip(NEXT) | instid1(VALU_DEP_1)
	v_fma_f32 v63, -v65, v63, v62
	v_cmp_lt_f32_e64 s0, 0, v63
	s_wait_alu 0xf1ff
	s_delay_alu instid0(VALU_DEP_1) | instskip(NEXT) | instid1(VALU_DEP_1)
	v_cndmask_b32_e64 v63, v64, v65, s0
	v_mul_f32_e32 v64, 0x37800000, v63
	s_delay_alu instid0(VALU_DEP_1) | instskip(SKIP_2) | instid1(VALU_DEP_2)
	v_cndmask_b32_e32 v63, v63, v64, vcc_lo
	v_cmp_class_f32_e64 vcc_lo, v62, 0x260
	s_wait_alu 0xfffd
	v_cndmask_b32_e32 v62, v63, v62, vcc_lo
	s_delay_alu instid0(VALU_DEP_1) | instskip(SKIP_1) | instid1(VALU_DEP_2)
	v_sub_f32_e32 v63, v62, v179
	v_fma_f32 v62, -v61, v62, 1.0
	v_cmp_gt_f32_e32 vcc_lo, 0, v63
	v_cmp_gt_f32_e64 s0, s29, v63
	s_wait_alu 0xfffd
	v_cndmask_b32_e64 v64, 0, 0x42980000, vcc_lo
	s_delay_alu instid0(VALU_DEP_1) | instskip(SKIP_4) | instid1(VALU_DEP_3)
	v_fmac_f32_e32 v163, v62, v64
	v_fma_f32 v62, -s31, v63, 1.0
	s_wait_alu 0xf1ff
	v_cndmask_b32_e64 v64, 0, 1.0, s0
	v_cmp_gt_f32_e64 s0, s28, v63
	v_cndmask_b32_e64 v62, v62, 1.0, vcc_lo
	s_and_b32 s0, s26, s0
	s_delay_alu instid0(VALU_DEP_1) | instskip(SKIP_2) | instid1(VALU_DEP_1)
	v_mul_f32_e32 v62, v64, v62
	scratch_load_b32 v64, off, off offset:3516 ; 4-byte Folded Reload
	v_mul_f32_e32 v62, v134, v62
	v_cndmask_b32_e64 v62, v62, -|v62|, s27
	s_delay_alu instid0(VALU_DEP_1) | instskip(SKIP_3) | instid1(VALU_DEP_2)
	v_fmac_f32_e32 v163, 0x42340000, v62
	v_fma_f32 v62, -v132, v63, 1.0
	s_wait_alu 0xfffe
	v_cndmask_b32_e64 v63, 0, 1.0, s0
	v_cndmask_b32_e64 v62, v62, 1.0, vcc_lo
	s_delay_alu instid0(VALU_DEP_2) | instskip(NEXT) | instid1(VALU_DEP_1)
	v_mul_f32_e32 v63, s30, v63
	v_fmac_f32_e32 v163, v62, v63
	s_clause 0x1
	scratch_load_b32 v62, off, off offset:3508
	scratch_load_b32 v63, off, off offset:3512
	s_wait_loadcnt 0x2
	v_sub_f32_e32 v64, v64, v178
	s_wait_loadcnt 0x0
	v_dual_sub_f32 v62, v62, v176 :: v_dual_sub_f32 v63, v63, v177
	s_delay_alu instid0(VALU_DEP_1) | instskip(NEXT) | instid1(VALU_DEP_1)
	v_mul_f32_e32 v63, v63, v63
	v_fmac_f32_e32 v63, v62, v62
	s_delay_alu instid0(VALU_DEP_1) | instskip(NEXT) | instid1(VALU_DEP_1)
	v_fmac_f32_e32 v63, v64, v64
	v_cmp_gt_f32_e32 vcc_lo, 0xf800000, v63
	v_mul_f32_e32 v62, 0x4f800000, v63
	s_wait_alu 0xfffd
	s_delay_alu instid0(VALU_DEP_1) | instskip(NEXT) | instid1(VALU_DEP_1)
	v_cndmask_b32_e32 v62, v63, v62, vcc_lo
	v_sqrt_f32_e32 v63, v62
	s_delay_alu instid0(TRANS32_DEP_1) | instskip(NEXT) | instid1(VALU_DEP_1)
	v_add_nc_u32_e32 v64, -1, v63
	v_fma_f32 v65, -v64, v63, v62
	s_delay_alu instid0(VALU_DEP_1) | instskip(SKIP_2) | instid1(VALU_DEP_2)
	v_cmp_ge_f32_e64 s0, 0, v65
	v_add_nc_u32_e32 v65, 1, v63
	s_wait_alu 0xf1ff
	v_cndmask_b32_e64 v64, v63, v64, s0
	s_delay_alu instid0(VALU_DEP_2) | instskip(NEXT) | instid1(VALU_DEP_1)
	v_fma_f32 v63, -v65, v63, v62
	v_cmp_lt_f32_e64 s0, 0, v63
	s_wait_alu 0xf1ff
	s_delay_alu instid0(VALU_DEP_1) | instskip(NEXT) | instid1(VALU_DEP_1)
	v_cndmask_b32_e64 v63, v64, v65, s0
	v_mul_f32_e32 v64, 0x37800000, v63
	s_delay_alu instid0(VALU_DEP_1) | instskip(SKIP_2) | instid1(VALU_DEP_2)
	v_cndmask_b32_e32 v63, v63, v64, vcc_lo
	v_cmp_class_f32_e64 vcc_lo, v62, 0x260
	s_wait_alu 0xfffd
	v_cndmask_b32_e32 v62, v63, v62, vcc_lo
	s_delay_alu instid0(VALU_DEP_1) | instskip(SKIP_1) | instid1(VALU_DEP_2)
	v_sub_f32_e32 v63, v62, v179
	v_fma_f32 v62, -v61, v62, 1.0
	v_cmp_gt_f32_e32 vcc_lo, 0, v63
	v_cmp_gt_f32_e64 s0, s29, v63
	s_wait_alu 0xfffd
	v_cndmask_b32_e64 v64, 0, 0x42980000, vcc_lo
	s_delay_alu instid0(VALU_DEP_1) | instskip(SKIP_4) | instid1(VALU_DEP_3)
	v_fmac_f32_e32 v156, v62, v64
	v_fma_f32 v62, -s31, v63, 1.0
	s_wait_alu 0xf1ff
	v_cndmask_b32_e64 v64, 0, 1.0, s0
	v_cmp_gt_f32_e64 s0, s28, v63
	v_cndmask_b32_e64 v62, v62, 1.0, vcc_lo
	s_and_b32 s0, s26, s0
	s_delay_alu instid0(VALU_DEP_1) | instskip(SKIP_2) | instid1(VALU_DEP_1)
	v_mul_f32_e32 v62, v64, v62
	scratch_load_b32 v64, off, off offset:3528 ; 4-byte Folded Reload
	v_mul_f32_e32 v62, v134, v62
	v_cndmask_b32_e64 v62, v62, -|v62|, s27
	s_delay_alu instid0(VALU_DEP_1) | instskip(SKIP_3) | instid1(VALU_DEP_2)
	v_fmac_f32_e32 v156, 0x42340000, v62
	v_fma_f32 v62, -v132, v63, 1.0
	s_wait_alu 0xfffe
	v_cndmask_b32_e64 v63, 0, 1.0, s0
	v_cndmask_b32_e64 v62, v62, 1.0, vcc_lo
	s_delay_alu instid0(VALU_DEP_2) | instskip(NEXT) | instid1(VALU_DEP_1)
	v_mul_f32_e32 v63, s30, v63
	v_fmac_f32_e32 v156, v62, v63
	s_clause 0x1
	scratch_load_b32 v62, off, off offset:3520
	scratch_load_b32 v63, off, off offset:3524
	s_wait_loadcnt 0x2
	v_sub_f32_e32 v64, v64, v178
	s_wait_loadcnt 0x0
	v_dual_sub_f32 v62, v62, v176 :: v_dual_sub_f32 v63, v63, v177
	s_delay_alu instid0(VALU_DEP_1) | instskip(NEXT) | instid1(VALU_DEP_1)
	v_mul_f32_e32 v63, v63, v63
	v_fmac_f32_e32 v63, v62, v62
	s_delay_alu instid0(VALU_DEP_1) | instskip(NEXT) | instid1(VALU_DEP_1)
	v_fmac_f32_e32 v63, v64, v64
	v_cmp_gt_f32_e32 vcc_lo, 0xf800000, v63
	v_mul_f32_e32 v62, 0x4f800000, v63
	s_wait_alu 0xfffd
	s_delay_alu instid0(VALU_DEP_1) | instskip(NEXT) | instid1(VALU_DEP_1)
	v_cndmask_b32_e32 v62, v63, v62, vcc_lo
	v_sqrt_f32_e32 v63, v62
	s_delay_alu instid0(TRANS32_DEP_1) | instskip(NEXT) | instid1(VALU_DEP_1)
	v_add_nc_u32_e32 v64, -1, v63
	v_fma_f32 v65, -v64, v63, v62
	s_delay_alu instid0(VALU_DEP_1) | instskip(SKIP_2) | instid1(VALU_DEP_2)
	v_cmp_ge_f32_e64 s0, 0, v65
	v_add_nc_u32_e32 v65, 1, v63
	s_wait_alu 0xf1ff
	v_cndmask_b32_e64 v64, v63, v64, s0
	s_delay_alu instid0(VALU_DEP_2) | instskip(NEXT) | instid1(VALU_DEP_1)
	v_fma_f32 v63, -v65, v63, v62
	v_cmp_lt_f32_e64 s0, 0, v63
	s_wait_alu 0xf1ff
	s_delay_alu instid0(VALU_DEP_1) | instskip(NEXT) | instid1(VALU_DEP_1)
	v_cndmask_b32_e64 v63, v64, v65, s0
	v_mul_f32_e32 v64, 0x37800000, v63
	s_delay_alu instid0(VALU_DEP_1) | instskip(SKIP_2) | instid1(VALU_DEP_2)
	v_cndmask_b32_e32 v63, v63, v64, vcc_lo
	v_cmp_class_f32_e64 vcc_lo, v62, 0x260
	s_wait_alu 0xfffd
	v_cndmask_b32_e32 v62, v63, v62, vcc_lo
	s_delay_alu instid0(VALU_DEP_1) | instskip(SKIP_1) | instid1(VALU_DEP_2)
	v_sub_f32_e32 v63, v62, v179
	v_fma_f32 v62, -v61, v62, 1.0
	v_cmp_gt_f32_e32 vcc_lo, 0, v63
	v_cmp_gt_f32_e64 s0, s29, v63
	s_wait_alu 0xfffd
	v_cndmask_b32_e64 v64, 0, 0x42980000, vcc_lo
	s_delay_alu instid0(VALU_DEP_1) | instskip(SKIP_4) | instid1(VALU_DEP_3)
	v_fmac_f32_e32 v157, v62, v64
	v_fma_f32 v62, -s31, v63, 1.0
	s_wait_alu 0xf1ff
	v_cndmask_b32_e64 v64, 0, 1.0, s0
	v_cmp_gt_f32_e64 s0, s28, v63
	v_cndmask_b32_e64 v62, v62, 1.0, vcc_lo
	s_and_b32 s0, s26, s0
	s_delay_alu instid0(VALU_DEP_1) | instskip(SKIP_2) | instid1(VALU_DEP_1)
	v_mul_f32_e32 v62, v64, v62
	scratch_load_b32 v64, off, off offset:3540 ; 4-byte Folded Reload
	v_mul_f32_e32 v62, v134, v62
	v_cndmask_b32_e64 v62, v62, -|v62|, s27
	s_delay_alu instid0(VALU_DEP_1) | instskip(SKIP_3) | instid1(VALU_DEP_2)
	v_fmac_f32_e32 v157, 0x42340000, v62
	v_fma_f32 v62, -v132, v63, 1.0
	s_wait_alu 0xfffe
	v_cndmask_b32_e64 v63, 0, 1.0, s0
	v_cndmask_b32_e64 v62, v62, 1.0, vcc_lo
	s_delay_alu instid0(VALU_DEP_2) | instskip(NEXT) | instid1(VALU_DEP_1)
	v_mul_f32_e32 v63, s30, v63
	v_fmac_f32_e32 v157, v62, v63
	s_clause 0x1
	scratch_load_b32 v62, off, off offset:3532
	scratch_load_b32 v63, off, off offset:3536
	s_wait_loadcnt 0x2
	v_sub_f32_e32 v64, v64, v178
	s_wait_loadcnt 0x0
	v_dual_sub_f32 v62, v62, v176 :: v_dual_sub_f32 v63, v63, v177
	s_delay_alu instid0(VALU_DEP_1) | instskip(NEXT) | instid1(VALU_DEP_1)
	v_mul_f32_e32 v63, v63, v63
	v_fmac_f32_e32 v63, v62, v62
	s_delay_alu instid0(VALU_DEP_1) | instskip(NEXT) | instid1(VALU_DEP_1)
	v_fmac_f32_e32 v63, v64, v64
	v_cmp_gt_f32_e32 vcc_lo, 0xf800000, v63
	v_mul_f32_e32 v62, 0x4f800000, v63
	s_wait_alu 0xfffd
	s_delay_alu instid0(VALU_DEP_1) | instskip(NEXT) | instid1(VALU_DEP_1)
	v_cndmask_b32_e32 v62, v63, v62, vcc_lo
	v_sqrt_f32_e32 v63, v62
	s_delay_alu instid0(TRANS32_DEP_1) | instskip(NEXT) | instid1(VALU_DEP_1)
	v_add_nc_u32_e32 v64, -1, v63
	v_fma_f32 v65, -v64, v63, v62
	s_delay_alu instid0(VALU_DEP_1) | instskip(SKIP_2) | instid1(VALU_DEP_2)
	v_cmp_ge_f32_e64 s0, 0, v65
	v_add_nc_u32_e32 v65, 1, v63
	s_wait_alu 0xf1ff
	v_cndmask_b32_e64 v64, v63, v64, s0
	s_delay_alu instid0(VALU_DEP_2) | instskip(NEXT) | instid1(VALU_DEP_1)
	v_fma_f32 v63, -v65, v63, v62
	v_cmp_lt_f32_e64 s0, 0, v63
	s_wait_alu 0xf1ff
	s_delay_alu instid0(VALU_DEP_1) | instskip(NEXT) | instid1(VALU_DEP_1)
	v_cndmask_b32_e64 v63, v64, v65, s0
	v_mul_f32_e32 v64, 0x37800000, v63
	s_delay_alu instid0(VALU_DEP_1) | instskip(SKIP_2) | instid1(VALU_DEP_2)
	v_cndmask_b32_e32 v63, v63, v64, vcc_lo
	v_cmp_class_f32_e64 vcc_lo, v62, 0x260
	s_wait_alu 0xfffd
	v_cndmask_b32_e32 v62, v63, v62, vcc_lo
	s_delay_alu instid0(VALU_DEP_1) | instskip(SKIP_1) | instid1(VALU_DEP_2)
	v_sub_f32_e32 v63, v62, v179
	v_fma_f32 v62, -v61, v62, 1.0
	v_cmp_gt_f32_e32 vcc_lo, 0, v63
	v_cmp_gt_f32_e64 s0, s29, v63
	s_wait_alu 0xfffd
	v_cndmask_b32_e64 v64, 0, 0x42980000, vcc_lo
	s_delay_alu instid0(VALU_DEP_1) | instskip(SKIP_4) | instid1(VALU_DEP_3)
	v_fmac_f32_e32 v158, v62, v64
	v_fma_f32 v62, -s31, v63, 1.0
	s_wait_alu 0xf1ff
	v_cndmask_b32_e64 v64, 0, 1.0, s0
	v_cmp_gt_f32_e64 s0, s28, v63
	v_cndmask_b32_e64 v62, v62, 1.0, vcc_lo
	s_and_b32 s0, s26, s0
	s_delay_alu instid0(VALU_DEP_1) | instskip(SKIP_2) | instid1(VALU_DEP_1)
	v_mul_f32_e32 v62, v64, v62
	scratch_load_b32 v64, off, off offset:3552 ; 4-byte Folded Reload
	v_mul_f32_e32 v62, v134, v62
	v_cndmask_b32_e64 v62, v62, -|v62|, s27
	s_delay_alu instid0(VALU_DEP_1) | instskip(SKIP_3) | instid1(VALU_DEP_2)
	v_fmac_f32_e32 v158, 0x42340000, v62
	v_fma_f32 v62, -v132, v63, 1.0
	s_wait_alu 0xfffe
	v_cndmask_b32_e64 v63, 0, 1.0, s0
	v_cndmask_b32_e64 v62, v62, 1.0, vcc_lo
	s_delay_alu instid0(VALU_DEP_2) | instskip(NEXT) | instid1(VALU_DEP_1)
	v_mul_f32_e32 v63, s30, v63
	v_fmac_f32_e32 v158, v62, v63
	s_clause 0x1
	scratch_load_b32 v62, off, off offset:3544
	scratch_load_b32 v63, off, off offset:3548
	s_wait_loadcnt 0x2
	v_sub_f32_e32 v64, v64, v178
	s_wait_loadcnt 0x0
	v_dual_sub_f32 v62, v62, v176 :: v_dual_sub_f32 v63, v63, v177
	s_delay_alu instid0(VALU_DEP_1) | instskip(NEXT) | instid1(VALU_DEP_1)
	v_mul_f32_e32 v63, v63, v63
	v_fmac_f32_e32 v63, v62, v62
	s_delay_alu instid0(VALU_DEP_1) | instskip(NEXT) | instid1(VALU_DEP_1)
	v_fmac_f32_e32 v63, v64, v64
	v_cmp_gt_f32_e32 vcc_lo, 0xf800000, v63
	v_mul_f32_e32 v62, 0x4f800000, v63
	s_wait_alu 0xfffd
	s_delay_alu instid0(VALU_DEP_1) | instskip(NEXT) | instid1(VALU_DEP_1)
	v_cndmask_b32_e32 v62, v63, v62, vcc_lo
	v_sqrt_f32_e32 v63, v62
	s_delay_alu instid0(TRANS32_DEP_1) | instskip(NEXT) | instid1(VALU_DEP_1)
	v_add_nc_u32_e32 v64, -1, v63
	v_fma_f32 v65, -v64, v63, v62
	s_delay_alu instid0(VALU_DEP_1) | instskip(SKIP_2) | instid1(VALU_DEP_2)
	v_cmp_ge_f32_e64 s0, 0, v65
	v_add_nc_u32_e32 v65, 1, v63
	s_wait_alu 0xf1ff
	v_cndmask_b32_e64 v64, v63, v64, s0
	s_delay_alu instid0(VALU_DEP_2) | instskip(NEXT) | instid1(VALU_DEP_1)
	v_fma_f32 v63, -v65, v63, v62
	v_cmp_lt_f32_e64 s0, 0, v63
	s_wait_alu 0xf1ff
	s_delay_alu instid0(VALU_DEP_1) | instskip(NEXT) | instid1(VALU_DEP_1)
	v_cndmask_b32_e64 v63, v64, v65, s0
	v_mul_f32_e32 v64, 0x37800000, v63
	s_delay_alu instid0(VALU_DEP_1) | instskip(SKIP_2) | instid1(VALU_DEP_2)
	v_cndmask_b32_e32 v63, v63, v64, vcc_lo
	v_cmp_class_f32_e64 vcc_lo, v62, 0x260
	s_wait_alu 0xfffd
	v_cndmask_b32_e32 v62, v63, v62, vcc_lo
	s_delay_alu instid0(VALU_DEP_1) | instskip(SKIP_1) | instid1(VALU_DEP_2)
	v_sub_f32_e32 v63, v62, v179
	v_fma_f32 v62, -v61, v62, 1.0
	v_cmp_gt_f32_e32 vcc_lo, 0, v63
	v_cmp_gt_f32_e64 s0, s29, v63
	s_wait_alu 0xfffd
	v_cndmask_b32_e64 v64, 0, 0x42980000, vcc_lo
	s_delay_alu instid0(VALU_DEP_1) | instskip(SKIP_4) | instid1(VALU_DEP_3)
	v_fmac_f32_e32 v159, v62, v64
	v_fma_f32 v62, -s31, v63, 1.0
	s_wait_alu 0xf1ff
	v_cndmask_b32_e64 v64, 0, 1.0, s0
	v_cmp_gt_f32_e64 s0, s28, v63
	v_cndmask_b32_e64 v62, v62, 1.0, vcc_lo
	s_and_b32 s0, s26, s0
	s_delay_alu instid0(VALU_DEP_1) | instskip(SKIP_2) | instid1(VALU_DEP_1)
	v_mul_f32_e32 v62, v64, v62
	scratch_load_b32 v64, off, off offset:3564 ; 4-byte Folded Reload
	v_mul_f32_e32 v62, v134, v62
	v_cndmask_b32_e64 v62, v62, -|v62|, s27
	s_delay_alu instid0(VALU_DEP_1) | instskip(SKIP_3) | instid1(VALU_DEP_2)
	v_fmac_f32_e32 v159, 0x42340000, v62
	v_fma_f32 v62, -v132, v63, 1.0
	s_wait_alu 0xfffe
	v_cndmask_b32_e64 v63, 0, 1.0, s0
	v_cndmask_b32_e64 v62, v62, 1.0, vcc_lo
	s_delay_alu instid0(VALU_DEP_2) | instskip(NEXT) | instid1(VALU_DEP_1)
	v_mul_f32_e32 v63, s30, v63
	v_fmac_f32_e32 v159, v62, v63
	s_clause 0x1
	scratch_load_b32 v62, off, off offset:3556
	scratch_load_b32 v63, off, off offset:3560
	s_wait_loadcnt 0x2
	v_sub_f32_e32 v64, v64, v178
	s_wait_loadcnt 0x0
	v_dual_sub_f32 v62, v62, v176 :: v_dual_sub_f32 v63, v63, v177
	s_delay_alu instid0(VALU_DEP_1) | instskip(NEXT) | instid1(VALU_DEP_1)
	v_mul_f32_e32 v63, v63, v63
	v_fmac_f32_e32 v63, v62, v62
	s_delay_alu instid0(VALU_DEP_1) | instskip(NEXT) | instid1(VALU_DEP_1)
	v_fmac_f32_e32 v63, v64, v64
	v_cmp_gt_f32_e32 vcc_lo, 0xf800000, v63
	v_mul_f32_e32 v62, 0x4f800000, v63
	s_wait_alu 0xfffd
	s_delay_alu instid0(VALU_DEP_1) | instskip(NEXT) | instid1(VALU_DEP_1)
	v_cndmask_b32_e32 v62, v63, v62, vcc_lo
	v_sqrt_f32_e32 v63, v62
	s_delay_alu instid0(TRANS32_DEP_1) | instskip(NEXT) | instid1(VALU_DEP_1)
	v_add_nc_u32_e32 v64, -1, v63
	v_fma_f32 v65, -v64, v63, v62
	s_delay_alu instid0(VALU_DEP_1) | instskip(SKIP_2) | instid1(VALU_DEP_2)
	v_cmp_ge_f32_e64 s0, 0, v65
	v_add_nc_u32_e32 v65, 1, v63
	s_wait_alu 0xf1ff
	v_cndmask_b32_e64 v64, v63, v64, s0
	s_delay_alu instid0(VALU_DEP_2) | instskip(NEXT) | instid1(VALU_DEP_1)
	v_fma_f32 v63, -v65, v63, v62
	v_cmp_lt_f32_e64 s0, 0, v63
	s_wait_alu 0xf1ff
	s_delay_alu instid0(VALU_DEP_1) | instskip(NEXT) | instid1(VALU_DEP_1)
	v_cndmask_b32_e64 v63, v64, v65, s0
	v_mul_f32_e32 v64, 0x37800000, v63
	s_delay_alu instid0(VALU_DEP_1) | instskip(SKIP_2) | instid1(VALU_DEP_2)
	v_cndmask_b32_e32 v63, v63, v64, vcc_lo
	v_cmp_class_f32_e64 vcc_lo, v62, 0x260
	s_wait_alu 0xfffd
	v_cndmask_b32_e32 v62, v63, v62, vcc_lo
	s_delay_alu instid0(VALU_DEP_1) | instskip(SKIP_1) | instid1(VALU_DEP_2)
	v_sub_f32_e32 v63, v62, v179
	v_fma_f32 v62, -v61, v62, 1.0
	v_cmp_gt_f32_e32 vcc_lo, 0, v63
	v_cmp_gt_f32_e64 s0, s29, v63
	s_wait_alu 0xfffd
	v_cndmask_b32_e64 v64, 0, 0x42980000, vcc_lo
	s_delay_alu instid0(VALU_DEP_1) | instskip(SKIP_4) | instid1(VALU_DEP_3)
	v_fmac_f32_e32 v152, v62, v64
	v_fma_f32 v62, -s31, v63, 1.0
	s_wait_alu 0xf1ff
	v_cndmask_b32_e64 v64, 0, 1.0, s0
	v_cmp_gt_f32_e64 s0, s28, v63
	v_cndmask_b32_e64 v62, v62, 1.0, vcc_lo
	s_and_b32 s0, s26, s0
	s_delay_alu instid0(VALU_DEP_1) | instskip(SKIP_2) | instid1(VALU_DEP_1)
	v_mul_f32_e32 v62, v64, v62
	scratch_load_b32 v64, off, off offset:3576 ; 4-byte Folded Reload
	v_mul_f32_e32 v62, v134, v62
	v_cndmask_b32_e64 v62, v62, -|v62|, s27
	s_delay_alu instid0(VALU_DEP_1) | instskip(SKIP_3) | instid1(VALU_DEP_2)
	v_fmac_f32_e32 v152, 0x42340000, v62
	v_fma_f32 v62, -v132, v63, 1.0
	s_wait_alu 0xfffe
	v_cndmask_b32_e64 v63, 0, 1.0, s0
	v_cndmask_b32_e64 v62, v62, 1.0, vcc_lo
	s_delay_alu instid0(VALU_DEP_2) | instskip(NEXT) | instid1(VALU_DEP_1)
	v_mul_f32_e32 v63, s30, v63
	v_fmac_f32_e32 v152, v62, v63
	s_clause 0x1
	scratch_load_b32 v62, off, off offset:3568
	scratch_load_b32 v63, off, off offset:3572
	s_wait_loadcnt 0x2
	v_sub_f32_e32 v64, v64, v178
	s_wait_loadcnt 0x0
	v_dual_sub_f32 v62, v62, v176 :: v_dual_sub_f32 v63, v63, v177
	s_delay_alu instid0(VALU_DEP_1) | instskip(NEXT) | instid1(VALU_DEP_1)
	v_mul_f32_e32 v63, v63, v63
	v_fmac_f32_e32 v63, v62, v62
	s_delay_alu instid0(VALU_DEP_1) | instskip(NEXT) | instid1(VALU_DEP_1)
	v_fmac_f32_e32 v63, v64, v64
	v_cmp_gt_f32_e32 vcc_lo, 0xf800000, v63
	v_mul_f32_e32 v62, 0x4f800000, v63
	s_wait_alu 0xfffd
	s_delay_alu instid0(VALU_DEP_1) | instskip(NEXT) | instid1(VALU_DEP_1)
	v_cndmask_b32_e32 v62, v63, v62, vcc_lo
	v_sqrt_f32_e32 v63, v62
	s_delay_alu instid0(TRANS32_DEP_1) | instskip(NEXT) | instid1(VALU_DEP_1)
	v_add_nc_u32_e32 v64, -1, v63
	v_fma_f32 v65, -v64, v63, v62
	s_delay_alu instid0(VALU_DEP_1) | instskip(SKIP_2) | instid1(VALU_DEP_2)
	v_cmp_ge_f32_e64 s0, 0, v65
	v_add_nc_u32_e32 v65, 1, v63
	s_wait_alu 0xf1ff
	v_cndmask_b32_e64 v64, v63, v64, s0
	s_delay_alu instid0(VALU_DEP_2) | instskip(NEXT) | instid1(VALU_DEP_1)
	v_fma_f32 v63, -v65, v63, v62
	v_cmp_lt_f32_e64 s0, 0, v63
	s_wait_alu 0xf1ff
	s_delay_alu instid0(VALU_DEP_1) | instskip(NEXT) | instid1(VALU_DEP_1)
	v_cndmask_b32_e64 v63, v64, v65, s0
	v_mul_f32_e32 v64, 0x37800000, v63
	s_delay_alu instid0(VALU_DEP_1) | instskip(SKIP_2) | instid1(VALU_DEP_2)
	v_cndmask_b32_e32 v63, v63, v64, vcc_lo
	v_cmp_class_f32_e64 vcc_lo, v62, 0x260
	s_wait_alu 0xfffd
	v_cndmask_b32_e32 v62, v63, v62, vcc_lo
	s_delay_alu instid0(VALU_DEP_1) | instskip(SKIP_1) | instid1(VALU_DEP_2)
	v_sub_f32_e32 v63, v62, v179
	v_fma_f32 v62, -v61, v62, 1.0
	v_cmp_gt_f32_e32 vcc_lo, 0, v63
	v_cmp_gt_f32_e64 s0, s29, v63
	s_wait_alu 0xfffd
	v_cndmask_b32_e64 v64, 0, 0x42980000, vcc_lo
	s_delay_alu instid0(VALU_DEP_1) | instskip(SKIP_4) | instid1(VALU_DEP_3)
	v_fmac_f32_e32 v153, v62, v64
	v_fma_f32 v62, -s31, v63, 1.0
	s_wait_alu 0xf1ff
	v_cndmask_b32_e64 v64, 0, 1.0, s0
	v_cmp_gt_f32_e64 s0, s28, v63
	v_cndmask_b32_e64 v62, v62, 1.0, vcc_lo
	s_and_b32 s0, s26, s0
	s_delay_alu instid0(VALU_DEP_1) | instskip(SKIP_2) | instid1(VALU_DEP_1)
	v_mul_f32_e32 v62, v64, v62
	scratch_load_b32 v64, off, off offset:3588 ; 4-byte Folded Reload
	v_mul_f32_e32 v62, v134, v62
	v_cndmask_b32_e64 v62, v62, -|v62|, s27
	s_delay_alu instid0(VALU_DEP_1) | instskip(SKIP_3) | instid1(VALU_DEP_2)
	v_fmac_f32_e32 v153, 0x42340000, v62
	v_fma_f32 v62, -v132, v63, 1.0
	s_wait_alu 0xfffe
	v_cndmask_b32_e64 v63, 0, 1.0, s0
	v_cndmask_b32_e64 v62, v62, 1.0, vcc_lo
	s_delay_alu instid0(VALU_DEP_2) | instskip(NEXT) | instid1(VALU_DEP_1)
	v_mul_f32_e32 v63, s30, v63
	v_fmac_f32_e32 v153, v62, v63
	s_clause 0x1
	scratch_load_b32 v62, off, off offset:3580
	scratch_load_b32 v63, off, off offset:3584
	s_wait_loadcnt 0x2
	v_sub_f32_e32 v64, v64, v178
	s_wait_loadcnt 0x0
	v_dual_sub_f32 v62, v62, v176 :: v_dual_sub_f32 v63, v63, v177
	s_delay_alu instid0(VALU_DEP_1) | instskip(NEXT) | instid1(VALU_DEP_1)
	v_mul_f32_e32 v63, v63, v63
	v_fmac_f32_e32 v63, v62, v62
	s_delay_alu instid0(VALU_DEP_1) | instskip(NEXT) | instid1(VALU_DEP_1)
	v_fmac_f32_e32 v63, v64, v64
	v_cmp_gt_f32_e32 vcc_lo, 0xf800000, v63
	v_mul_f32_e32 v62, 0x4f800000, v63
	s_wait_alu 0xfffd
	s_delay_alu instid0(VALU_DEP_1) | instskip(NEXT) | instid1(VALU_DEP_1)
	v_cndmask_b32_e32 v62, v63, v62, vcc_lo
	v_sqrt_f32_e32 v63, v62
	s_delay_alu instid0(TRANS32_DEP_1) | instskip(NEXT) | instid1(VALU_DEP_1)
	v_add_nc_u32_e32 v64, -1, v63
	v_fma_f32 v65, -v64, v63, v62
	s_delay_alu instid0(VALU_DEP_1) | instskip(SKIP_2) | instid1(VALU_DEP_2)
	v_cmp_ge_f32_e64 s0, 0, v65
	v_add_nc_u32_e32 v65, 1, v63
	s_wait_alu 0xf1ff
	v_cndmask_b32_e64 v64, v63, v64, s0
	s_delay_alu instid0(VALU_DEP_2) | instskip(NEXT) | instid1(VALU_DEP_1)
	v_fma_f32 v63, -v65, v63, v62
	v_cmp_lt_f32_e64 s0, 0, v63
	s_wait_alu 0xf1ff
	s_delay_alu instid0(VALU_DEP_1) | instskip(NEXT) | instid1(VALU_DEP_1)
	v_cndmask_b32_e64 v63, v64, v65, s0
	v_mul_f32_e32 v64, 0x37800000, v63
	s_delay_alu instid0(VALU_DEP_1) | instskip(SKIP_2) | instid1(VALU_DEP_2)
	v_cndmask_b32_e32 v63, v63, v64, vcc_lo
	v_cmp_class_f32_e64 vcc_lo, v62, 0x260
	s_wait_alu 0xfffd
	v_cndmask_b32_e32 v62, v63, v62, vcc_lo
	s_delay_alu instid0(VALU_DEP_1) | instskip(SKIP_1) | instid1(VALU_DEP_2)
	v_sub_f32_e32 v63, v62, v179
	v_fma_f32 v62, -v61, v62, 1.0
	v_cmp_gt_f32_e32 vcc_lo, 0, v63
	v_cmp_gt_f32_e64 s0, s29, v63
	s_wait_alu 0xfffd
	v_cndmask_b32_e64 v64, 0, 0x42980000, vcc_lo
	s_delay_alu instid0(VALU_DEP_1) | instskip(SKIP_4) | instid1(VALU_DEP_3)
	v_fmac_f32_e32 v154, v62, v64
	v_fma_f32 v62, -s31, v63, 1.0
	s_wait_alu 0xf1ff
	v_cndmask_b32_e64 v64, 0, 1.0, s0
	v_cmp_gt_f32_e64 s0, s28, v63
	v_cndmask_b32_e64 v62, v62, 1.0, vcc_lo
	s_and_b32 s0, s26, s0
	s_delay_alu instid0(VALU_DEP_1) | instskip(SKIP_2) | instid1(VALU_DEP_1)
	v_mul_f32_e32 v62, v64, v62
	scratch_load_b32 v64, off, off offset:3600 ; 4-byte Folded Reload
	v_mul_f32_e32 v62, v134, v62
	v_cndmask_b32_e64 v62, v62, -|v62|, s27
	s_delay_alu instid0(VALU_DEP_1) | instskip(SKIP_3) | instid1(VALU_DEP_2)
	v_fmac_f32_e32 v154, 0x42340000, v62
	v_fma_f32 v62, -v132, v63, 1.0
	s_wait_alu 0xfffe
	v_cndmask_b32_e64 v63, 0, 1.0, s0
	v_cndmask_b32_e64 v62, v62, 1.0, vcc_lo
	s_delay_alu instid0(VALU_DEP_2) | instskip(NEXT) | instid1(VALU_DEP_1)
	v_mul_f32_e32 v63, s30, v63
	v_fmac_f32_e32 v154, v62, v63
	s_clause 0x1
	scratch_load_b32 v62, off, off offset:3592
	scratch_load_b32 v63, off, off offset:3596
	s_wait_loadcnt 0x2
	v_sub_f32_e32 v64, v64, v178
	s_wait_loadcnt 0x0
	v_dual_sub_f32 v62, v62, v176 :: v_dual_sub_f32 v63, v63, v177
	s_delay_alu instid0(VALU_DEP_1) | instskip(NEXT) | instid1(VALU_DEP_1)
	v_mul_f32_e32 v63, v63, v63
	v_fmac_f32_e32 v63, v62, v62
	s_delay_alu instid0(VALU_DEP_1) | instskip(NEXT) | instid1(VALU_DEP_1)
	v_fmac_f32_e32 v63, v64, v64
	v_cmp_gt_f32_e32 vcc_lo, 0xf800000, v63
	v_mul_f32_e32 v62, 0x4f800000, v63
	s_wait_alu 0xfffd
	s_delay_alu instid0(VALU_DEP_1) | instskip(NEXT) | instid1(VALU_DEP_1)
	v_cndmask_b32_e32 v62, v63, v62, vcc_lo
	v_sqrt_f32_e32 v63, v62
	s_delay_alu instid0(TRANS32_DEP_1) | instskip(NEXT) | instid1(VALU_DEP_1)
	v_add_nc_u32_e32 v64, -1, v63
	v_fma_f32 v65, -v64, v63, v62
	s_delay_alu instid0(VALU_DEP_1) | instskip(SKIP_2) | instid1(VALU_DEP_2)
	v_cmp_ge_f32_e64 s0, 0, v65
	v_add_nc_u32_e32 v65, 1, v63
	s_wait_alu 0xf1ff
	v_cndmask_b32_e64 v64, v63, v64, s0
	s_delay_alu instid0(VALU_DEP_2) | instskip(NEXT) | instid1(VALU_DEP_1)
	v_fma_f32 v63, -v65, v63, v62
	v_cmp_lt_f32_e64 s0, 0, v63
	s_wait_alu 0xf1ff
	s_delay_alu instid0(VALU_DEP_1) | instskip(NEXT) | instid1(VALU_DEP_1)
	v_cndmask_b32_e64 v63, v64, v65, s0
	v_mul_f32_e32 v64, 0x37800000, v63
	s_delay_alu instid0(VALU_DEP_1) | instskip(SKIP_2) | instid1(VALU_DEP_2)
	v_cndmask_b32_e32 v63, v63, v64, vcc_lo
	v_cmp_class_f32_e64 vcc_lo, v62, 0x260
	s_wait_alu 0xfffd
	v_cndmask_b32_e32 v62, v63, v62, vcc_lo
	s_delay_alu instid0(VALU_DEP_1) | instskip(SKIP_1) | instid1(VALU_DEP_2)
	v_sub_f32_e32 v63, v62, v179
	v_fma_f32 v62, -v61, v62, 1.0
	v_cmp_gt_f32_e32 vcc_lo, 0, v63
	v_cmp_gt_f32_e64 s0, s29, v63
	s_wait_alu 0xfffd
	v_cndmask_b32_e64 v64, 0, 0x42980000, vcc_lo
	s_delay_alu instid0(VALU_DEP_1) | instskip(SKIP_4) | instid1(VALU_DEP_3)
	v_fmac_f32_e32 v155, v62, v64
	v_fma_f32 v62, -s31, v63, 1.0
	s_wait_alu 0xf1ff
	v_cndmask_b32_e64 v64, 0, 1.0, s0
	v_cmp_gt_f32_e64 s0, s28, v63
	v_cndmask_b32_e64 v62, v62, 1.0, vcc_lo
	s_and_b32 s0, s26, s0
	s_delay_alu instid0(VALU_DEP_1) | instskip(SKIP_2) | instid1(VALU_DEP_1)
	v_mul_f32_e32 v62, v64, v62
	scratch_load_b32 v64, off, off offset:3612 ; 4-byte Folded Reload
	v_mul_f32_e32 v62, v134, v62
	v_cndmask_b32_e64 v62, v62, -|v62|, s27
	s_delay_alu instid0(VALU_DEP_1) | instskip(SKIP_3) | instid1(VALU_DEP_2)
	v_fmac_f32_e32 v155, 0x42340000, v62
	v_fma_f32 v62, -v132, v63, 1.0
	s_wait_alu 0xfffe
	v_cndmask_b32_e64 v63, 0, 1.0, s0
	v_cndmask_b32_e64 v62, v62, 1.0, vcc_lo
	s_delay_alu instid0(VALU_DEP_2) | instskip(NEXT) | instid1(VALU_DEP_1)
	v_mul_f32_e32 v63, s30, v63
	v_fmac_f32_e32 v155, v62, v63
	s_clause 0x1
	scratch_load_b32 v62, off, off offset:3604
	scratch_load_b32 v63, off, off offset:3608
	s_wait_loadcnt 0x2
	v_sub_f32_e32 v64, v64, v178
	s_wait_loadcnt 0x0
	v_dual_sub_f32 v62, v62, v176 :: v_dual_sub_f32 v63, v63, v177
	s_delay_alu instid0(VALU_DEP_1) | instskip(NEXT) | instid1(VALU_DEP_1)
	v_mul_f32_e32 v63, v63, v63
	v_fmac_f32_e32 v63, v62, v62
	s_delay_alu instid0(VALU_DEP_1) | instskip(NEXT) | instid1(VALU_DEP_1)
	v_fmac_f32_e32 v63, v64, v64
	v_cmp_gt_f32_e32 vcc_lo, 0xf800000, v63
	v_mul_f32_e32 v62, 0x4f800000, v63
	s_wait_alu 0xfffd
	s_delay_alu instid0(VALU_DEP_1) | instskip(NEXT) | instid1(VALU_DEP_1)
	v_cndmask_b32_e32 v62, v63, v62, vcc_lo
	v_sqrt_f32_e32 v63, v62
	s_delay_alu instid0(TRANS32_DEP_1) | instskip(NEXT) | instid1(VALU_DEP_1)
	v_add_nc_u32_e32 v64, -1, v63
	v_fma_f32 v65, -v64, v63, v62
	s_delay_alu instid0(VALU_DEP_1) | instskip(SKIP_2) | instid1(VALU_DEP_2)
	v_cmp_ge_f32_e64 s0, 0, v65
	v_add_nc_u32_e32 v65, 1, v63
	s_wait_alu 0xf1ff
	v_cndmask_b32_e64 v64, v63, v64, s0
	s_delay_alu instid0(VALU_DEP_2) | instskip(NEXT) | instid1(VALU_DEP_1)
	v_fma_f32 v63, -v65, v63, v62
	v_cmp_lt_f32_e64 s0, 0, v63
	s_wait_alu 0xf1ff
	s_delay_alu instid0(VALU_DEP_1) | instskip(NEXT) | instid1(VALU_DEP_1)
	v_cndmask_b32_e64 v63, v64, v65, s0
	v_mul_f32_e32 v64, 0x37800000, v63
	s_delay_alu instid0(VALU_DEP_1) | instskip(SKIP_2) | instid1(VALU_DEP_2)
	v_cndmask_b32_e32 v63, v63, v64, vcc_lo
	v_cmp_class_f32_e64 vcc_lo, v62, 0x260
	s_wait_alu 0xfffd
	v_cndmask_b32_e32 v62, v63, v62, vcc_lo
	s_delay_alu instid0(VALU_DEP_1) | instskip(SKIP_1) | instid1(VALU_DEP_2)
	v_sub_f32_e32 v63, v62, v179
	v_fma_f32 v62, -v61, v62, 1.0
	v_cmp_gt_f32_e32 vcc_lo, 0, v63
	v_cmp_gt_f32_e64 s0, s29, v63
	s_wait_alu 0xfffd
	v_cndmask_b32_e64 v64, 0, 0x42980000, vcc_lo
	s_delay_alu instid0(VALU_DEP_1) | instskip(SKIP_4) | instid1(VALU_DEP_3)
	v_fmac_f32_e32 v148, v62, v64
	v_fma_f32 v62, -s31, v63, 1.0
	s_wait_alu 0xf1ff
	v_cndmask_b32_e64 v64, 0, 1.0, s0
	v_cmp_gt_f32_e64 s0, s28, v63
	v_cndmask_b32_e64 v62, v62, 1.0, vcc_lo
	s_and_b32 s0, s26, s0
	s_delay_alu instid0(VALU_DEP_1) | instskip(SKIP_2) | instid1(VALU_DEP_1)
	v_mul_f32_e32 v62, v64, v62
	scratch_load_b32 v64, off, off offset:3624 ; 4-byte Folded Reload
	v_mul_f32_e32 v62, v134, v62
	v_cndmask_b32_e64 v62, v62, -|v62|, s27
	s_delay_alu instid0(VALU_DEP_1) | instskip(SKIP_3) | instid1(VALU_DEP_2)
	v_fmac_f32_e32 v148, 0x42340000, v62
	v_fma_f32 v62, -v132, v63, 1.0
	s_wait_alu 0xfffe
	v_cndmask_b32_e64 v63, 0, 1.0, s0
	v_cndmask_b32_e64 v62, v62, 1.0, vcc_lo
	s_delay_alu instid0(VALU_DEP_2) | instskip(NEXT) | instid1(VALU_DEP_1)
	v_mul_f32_e32 v63, s30, v63
	v_fmac_f32_e32 v148, v62, v63
	s_clause 0x1
	scratch_load_b32 v62, off, off offset:3616
	scratch_load_b32 v63, off, off offset:3620
	s_wait_loadcnt 0x2
	v_sub_f32_e32 v64, v64, v178
	s_wait_loadcnt 0x0
	v_dual_sub_f32 v62, v62, v176 :: v_dual_sub_f32 v63, v63, v177
	s_delay_alu instid0(VALU_DEP_1) | instskip(NEXT) | instid1(VALU_DEP_1)
	v_mul_f32_e32 v63, v63, v63
	v_fmac_f32_e32 v63, v62, v62
	s_delay_alu instid0(VALU_DEP_1) | instskip(NEXT) | instid1(VALU_DEP_1)
	v_fmac_f32_e32 v63, v64, v64
	v_cmp_gt_f32_e32 vcc_lo, 0xf800000, v63
	v_mul_f32_e32 v62, 0x4f800000, v63
	s_wait_alu 0xfffd
	s_delay_alu instid0(VALU_DEP_1) | instskip(NEXT) | instid1(VALU_DEP_1)
	v_cndmask_b32_e32 v62, v63, v62, vcc_lo
	v_sqrt_f32_e32 v63, v62
	s_delay_alu instid0(TRANS32_DEP_1) | instskip(NEXT) | instid1(VALU_DEP_1)
	v_add_nc_u32_e32 v64, -1, v63
	v_fma_f32 v65, -v64, v63, v62
	s_delay_alu instid0(VALU_DEP_1) | instskip(SKIP_2) | instid1(VALU_DEP_2)
	v_cmp_ge_f32_e64 s0, 0, v65
	v_add_nc_u32_e32 v65, 1, v63
	s_wait_alu 0xf1ff
	v_cndmask_b32_e64 v64, v63, v64, s0
	s_delay_alu instid0(VALU_DEP_2) | instskip(NEXT) | instid1(VALU_DEP_1)
	v_fma_f32 v63, -v65, v63, v62
	v_cmp_lt_f32_e64 s0, 0, v63
	s_wait_alu 0xf1ff
	s_delay_alu instid0(VALU_DEP_1) | instskip(NEXT) | instid1(VALU_DEP_1)
	v_cndmask_b32_e64 v63, v64, v65, s0
	v_mul_f32_e32 v64, 0x37800000, v63
	s_delay_alu instid0(VALU_DEP_1) | instskip(SKIP_2) | instid1(VALU_DEP_2)
	v_cndmask_b32_e32 v63, v63, v64, vcc_lo
	v_cmp_class_f32_e64 vcc_lo, v62, 0x260
	s_wait_alu 0xfffd
	v_cndmask_b32_e32 v62, v63, v62, vcc_lo
	s_delay_alu instid0(VALU_DEP_1) | instskip(SKIP_1) | instid1(VALU_DEP_2)
	v_sub_f32_e32 v63, v62, v179
	v_fma_f32 v62, -v61, v62, 1.0
	v_cmp_gt_f32_e32 vcc_lo, 0, v63
	v_cmp_gt_f32_e64 s0, s29, v63
	s_wait_alu 0xfffd
	v_cndmask_b32_e64 v64, 0, 0x42980000, vcc_lo
	s_delay_alu instid0(VALU_DEP_1) | instskip(SKIP_4) | instid1(VALU_DEP_3)
	v_fmac_f32_e32 v149, v62, v64
	v_fma_f32 v62, -s31, v63, 1.0
	s_wait_alu 0xf1ff
	v_cndmask_b32_e64 v64, 0, 1.0, s0
	v_cmp_gt_f32_e64 s0, s28, v63
	v_cndmask_b32_e64 v62, v62, 1.0, vcc_lo
	s_and_b32 s0, s26, s0
	s_delay_alu instid0(VALU_DEP_1) | instskip(SKIP_1) | instid1(VALU_DEP_2)
	v_mul_f32_e32 v62, v64, v62
	v_sub_f32_e32 v64, v66, v178
	v_mul_f32_e32 v62, v134, v62
	s_delay_alu instid0(VALU_DEP_1) | instskip(NEXT) | instid1(VALU_DEP_1)
	v_cndmask_b32_e64 v62, v62, -|v62|, s27
	v_fmac_f32_e32 v149, 0x42340000, v62
	v_fma_f32 v62, -v132, v63, 1.0
	s_wait_alu 0xfffe
	v_cndmask_b32_e64 v63, 0, 1.0, s0
	s_delay_alu instid0(VALU_DEP_2) | instskip(NEXT) | instid1(VALU_DEP_2)
	v_cndmask_b32_e64 v62, v62, 1.0, vcc_lo
	v_mul_f32_e32 v63, s30, v63
	s_delay_alu instid0(VALU_DEP_1)
	v_fmac_f32_e32 v149, v62, v63
	s_clause 0x1
	scratch_load_b32 v62, off, off offset:3628
	scratch_load_b32 v63, off, off offset:3632
	s_wait_loadcnt 0x0
	v_dual_sub_f32 v62, v62, v176 :: v_dual_sub_f32 v63, v63, v177
	s_delay_alu instid0(VALU_DEP_1) | instskip(NEXT) | instid1(VALU_DEP_1)
	v_mul_f32_e32 v63, v63, v63
	v_fmac_f32_e32 v63, v62, v62
	s_delay_alu instid0(VALU_DEP_1) | instskip(NEXT) | instid1(VALU_DEP_1)
	v_fmac_f32_e32 v63, v64, v64
	v_cmp_gt_f32_e32 vcc_lo, 0xf800000, v63
	v_mul_f32_e32 v62, 0x4f800000, v63
	s_wait_alu 0xfffd
	s_delay_alu instid0(VALU_DEP_1) | instskip(NEXT) | instid1(VALU_DEP_1)
	v_cndmask_b32_e32 v62, v63, v62, vcc_lo
	v_sqrt_f32_e32 v63, v62
	s_delay_alu instid0(TRANS32_DEP_1) | instskip(NEXT) | instid1(VALU_DEP_1)
	v_add_nc_u32_e32 v64, -1, v63
	v_fma_f32 v65, -v64, v63, v62
	s_delay_alu instid0(VALU_DEP_1) | instskip(SKIP_2) | instid1(VALU_DEP_2)
	v_cmp_ge_f32_e64 s0, 0, v65
	v_add_nc_u32_e32 v65, 1, v63
	s_wait_alu 0xf1ff
	v_cndmask_b32_e64 v64, v63, v64, s0
	s_delay_alu instid0(VALU_DEP_2) | instskip(NEXT) | instid1(VALU_DEP_1)
	v_fma_f32 v63, -v65, v63, v62
	v_cmp_lt_f32_e64 s0, 0, v63
	s_wait_alu 0xf1ff
	s_delay_alu instid0(VALU_DEP_1) | instskip(NEXT) | instid1(VALU_DEP_1)
	v_cndmask_b32_e64 v63, v64, v65, s0
	v_mul_f32_e32 v64, 0x37800000, v63
	s_delay_alu instid0(VALU_DEP_1) | instskip(SKIP_2) | instid1(VALU_DEP_2)
	v_cndmask_b32_e32 v63, v63, v64, vcc_lo
	v_cmp_class_f32_e64 vcc_lo, v62, 0x260
	s_wait_alu 0xfffd
	v_cndmask_b32_e32 v62, v63, v62, vcc_lo
	s_delay_alu instid0(VALU_DEP_1) | instskip(SKIP_1) | instid1(VALU_DEP_2)
	v_sub_f32_e32 v63, v62, v179
	v_fma_f32 v62, -v61, v62, 1.0
	v_cmp_gt_f32_e32 vcc_lo, 0, v63
	v_cmp_gt_f32_e64 s0, s29, v63
	s_wait_alu 0xfffd
	v_cndmask_b32_e64 v64, 0, 0x42980000, vcc_lo
	s_delay_alu instid0(VALU_DEP_1) | instskip(SKIP_3) | instid1(VALU_DEP_2)
	v_fmac_f32_e32 v150, v62, v64
	v_fma_f32 v62, -s31, v63, 1.0
	s_wait_alu 0xf1ff
	v_cndmask_b32_e64 v64, 0, 1.0, s0
	v_cndmask_b32_e64 v62, v62, 1.0, vcc_lo
	s_delay_alu instid0(VALU_DEP_1) | instskip(SKIP_2) | instid1(VALU_DEP_3)
	v_mul_f32_e32 v62, v64, v62
	v_cmp_gt_f32_e64 s0, s28, v63
	v_sub_f32_e32 v64, v69, v178
	v_mul_f32_e32 v62, v134, v62
	s_and_b32 s0, s26, s0
	s_delay_alu instid0(VALU_DEP_1) | instskip(NEXT) | instid1(VALU_DEP_1)
	v_cndmask_b32_e64 v62, v62, -|v62|, s27
	v_fmac_f32_e32 v150, 0x42340000, v62
	v_fma_f32 v62, -v132, v63, 1.0
	s_wait_alu 0xfffe
	v_cndmask_b32_e64 v63, 0, 1.0, s0
	s_delay_alu instid0(VALU_DEP_2) | instskip(NEXT) | instid1(VALU_DEP_2)
	v_cndmask_b32_e64 v62, v62, 1.0, vcc_lo
	v_mul_f32_e32 v63, s30, v63
	s_delay_alu instid0(VALU_DEP_1) | instskip(SKIP_1) | instid1(VALU_DEP_2)
	v_dual_fmac_f32 v150, v62, v63 :: v_dual_sub_f32 v63, v68, v177
	v_sub_f32_e32 v62, v67, v176
	v_mul_f32_e32 v63, v63, v63
	s_delay_alu instid0(VALU_DEP_1) | instskip(NEXT) | instid1(VALU_DEP_1)
	v_fmac_f32_e32 v63, v62, v62
	v_fmac_f32_e32 v63, v64, v64
	s_delay_alu instid0(VALU_DEP_1) | instskip(SKIP_2) | instid1(VALU_DEP_1)
	v_cmp_gt_f32_e32 vcc_lo, 0xf800000, v63
	v_mul_f32_e32 v62, 0x4f800000, v63
	s_wait_alu 0xfffd
	v_cndmask_b32_e32 v62, v63, v62, vcc_lo
	s_delay_alu instid0(VALU_DEP_1) | instskip(NEXT) | instid1(TRANS32_DEP_1)
	v_sqrt_f32_e32 v63, v62
	v_add_nc_u32_e32 v64, -1, v63
	s_delay_alu instid0(VALU_DEP_1) | instskip(NEXT) | instid1(VALU_DEP_1)
	v_fma_f32 v65, -v64, v63, v62
	v_cmp_ge_f32_e64 s0, 0, v65
	v_add_nc_u32_e32 v65, 1, v63
	s_wait_alu 0xf1ff
	s_delay_alu instid0(VALU_DEP_2) | instskip(NEXT) | instid1(VALU_DEP_2)
	v_cndmask_b32_e64 v64, v63, v64, s0
	v_fma_f32 v63, -v65, v63, v62
	s_delay_alu instid0(VALU_DEP_1) | instskip(SKIP_1) | instid1(VALU_DEP_1)
	v_cmp_lt_f32_e64 s0, 0, v63
	s_wait_alu 0xf1ff
	v_cndmask_b32_e64 v63, v64, v65, s0
	s_delay_alu instid0(VALU_DEP_1) | instskip(NEXT) | instid1(VALU_DEP_1)
	v_mul_f32_e32 v64, 0x37800000, v63
	v_cndmask_b32_e32 v63, v63, v64, vcc_lo
	v_cmp_class_f32_e64 vcc_lo, v62, 0x260
	s_wait_alu 0xfffd
	s_delay_alu instid0(VALU_DEP_2) | instskip(NEXT) | instid1(VALU_DEP_1)
	v_cndmask_b32_e32 v62, v63, v62, vcc_lo
	v_sub_f32_e32 v63, v62, v179
	v_fma_f32 v62, -v61, v62, 1.0
	s_delay_alu instid0(VALU_DEP_2) | instskip(SKIP_3) | instid1(VALU_DEP_1)
	v_cmp_gt_f32_e32 vcc_lo, 0, v63
	v_cmp_gt_f32_e64 s0, s29, v63
	s_wait_alu 0xfffd
	v_cndmask_b32_e64 v64, 0, 0x42980000, vcc_lo
	v_fmac_f32_e32 v151, v62, v64
	v_fma_f32 v62, -s31, v63, 1.0
	s_wait_alu 0xf1ff
	v_cndmask_b32_e64 v64, 0, 1.0, s0
	v_cmp_gt_f32_e64 s0, s28, v63
	s_delay_alu instid0(VALU_DEP_3) | instskip(SKIP_1) | instid1(VALU_DEP_1)
	v_cndmask_b32_e64 v62, v62, 1.0, vcc_lo
	s_and_b32 s0, s26, s0
	v_mul_f32_e32 v62, v64, v62
	v_sub_f32_e32 v64, v72, v178
	s_delay_alu instid0(VALU_DEP_2) | instskip(NEXT) | instid1(VALU_DEP_1)
	v_mul_f32_e32 v62, v134, v62
	v_cndmask_b32_e64 v62, v62, -|v62|, s27
	s_delay_alu instid0(VALU_DEP_1) | instskip(SKIP_3) | instid1(VALU_DEP_2)
	v_fmac_f32_e32 v151, 0x42340000, v62
	v_fma_f32 v62, -v132, v63, 1.0
	s_wait_alu 0xfffe
	v_cndmask_b32_e64 v63, 0, 1.0, s0
	v_cndmask_b32_e64 v62, v62, 1.0, vcc_lo
	s_delay_alu instid0(VALU_DEP_2) | instskip(NEXT) | instid1(VALU_DEP_1)
	v_mul_f32_e32 v63, s30, v63
	v_fmac_f32_e32 v151, v62, v63
	v_dual_sub_f32 v63, v71, v177 :: v_dual_sub_f32 v62, v70, v176
	s_delay_alu instid0(VALU_DEP_1) | instskip(NEXT) | instid1(VALU_DEP_1)
	v_mul_f32_e32 v63, v63, v63
	v_fmac_f32_e32 v63, v62, v62
	s_delay_alu instid0(VALU_DEP_1) | instskip(NEXT) | instid1(VALU_DEP_1)
	v_fmac_f32_e32 v63, v64, v64
	v_cmp_gt_f32_e32 vcc_lo, 0xf800000, v63
	v_mul_f32_e32 v62, 0x4f800000, v63
	s_wait_alu 0xfffd
	s_delay_alu instid0(VALU_DEP_1) | instskip(NEXT) | instid1(VALU_DEP_1)
	v_cndmask_b32_e32 v62, v63, v62, vcc_lo
	v_sqrt_f32_e32 v63, v62
	s_delay_alu instid0(TRANS32_DEP_1) | instskip(NEXT) | instid1(VALU_DEP_1)
	v_add_nc_u32_e32 v64, -1, v63
	v_fma_f32 v65, -v64, v63, v62
	s_delay_alu instid0(VALU_DEP_1) | instskip(SKIP_2) | instid1(VALU_DEP_2)
	v_cmp_ge_f32_e64 s0, 0, v65
	v_add_nc_u32_e32 v65, 1, v63
	s_wait_alu 0xf1ff
	v_cndmask_b32_e64 v64, v63, v64, s0
	s_delay_alu instid0(VALU_DEP_2) | instskip(NEXT) | instid1(VALU_DEP_1)
	v_fma_f32 v63, -v65, v63, v62
	v_cmp_lt_f32_e64 s0, 0, v63
	s_wait_alu 0xf1ff
	s_delay_alu instid0(VALU_DEP_1) | instskip(NEXT) | instid1(VALU_DEP_1)
	v_cndmask_b32_e64 v63, v64, v65, s0
	v_mul_f32_e32 v64, 0x37800000, v63
	s_delay_alu instid0(VALU_DEP_1) | instskip(SKIP_2) | instid1(VALU_DEP_2)
	v_cndmask_b32_e32 v63, v63, v64, vcc_lo
	v_cmp_class_f32_e64 vcc_lo, v62, 0x260
	s_wait_alu 0xfffd
	v_cndmask_b32_e32 v62, v63, v62, vcc_lo
	s_delay_alu instid0(VALU_DEP_1) | instskip(SKIP_1) | instid1(VALU_DEP_2)
	v_sub_f32_e32 v63, v62, v179
	v_fma_f32 v62, -v61, v62, 1.0
	v_cmp_gt_f32_e32 vcc_lo, 0, v63
	v_cmp_gt_f32_e64 s0, s29, v63
	s_wait_alu 0xfffd
	v_cndmask_b32_e64 v64, 0, 0x42980000, vcc_lo
	s_delay_alu instid0(VALU_DEP_1) | instskip(SKIP_4) | instid1(VALU_DEP_3)
	v_fmac_f32_e32 v144, v62, v64
	v_fma_f32 v62, -s31, v63, 1.0
	s_wait_alu 0xf1ff
	v_cndmask_b32_e64 v64, 0, 1.0, s0
	v_cmp_gt_f32_e64 s0, s28, v63
	v_cndmask_b32_e64 v62, v62, 1.0, vcc_lo
	s_and_b32 s0, s26, s0
	s_delay_alu instid0(VALU_DEP_1) | instskip(SKIP_1) | instid1(VALU_DEP_2)
	v_mul_f32_e32 v62, v64, v62
	v_sub_f32_e32 v64, v75, v178
	v_mul_f32_e32 v62, v134, v62
	s_delay_alu instid0(VALU_DEP_1) | instskip(NEXT) | instid1(VALU_DEP_1)
	v_cndmask_b32_e64 v62, v62, -|v62|, s27
	v_fmac_f32_e32 v144, 0x42340000, v62
	v_fma_f32 v62, -v132, v63, 1.0
	s_wait_alu 0xfffe
	v_cndmask_b32_e64 v63, 0, 1.0, s0
	s_delay_alu instid0(VALU_DEP_2) | instskip(NEXT) | instid1(VALU_DEP_2)
	v_cndmask_b32_e64 v62, v62, 1.0, vcc_lo
	v_mul_f32_e32 v63, s30, v63
	s_delay_alu instid0(VALU_DEP_1) | instskip(SKIP_1) | instid1(VALU_DEP_1)
	v_fmac_f32_e32 v144, v62, v63
	v_dual_sub_f32 v63, v74, v177 :: v_dual_sub_f32 v62, v73, v176
	v_mul_f32_e32 v63, v63, v63
	s_delay_alu instid0(VALU_DEP_1) | instskip(NEXT) | instid1(VALU_DEP_1)
	v_fmac_f32_e32 v63, v62, v62
	v_fmac_f32_e32 v63, v64, v64
	s_delay_alu instid0(VALU_DEP_1) | instskip(SKIP_2) | instid1(VALU_DEP_1)
	v_cmp_gt_f32_e32 vcc_lo, 0xf800000, v63
	v_mul_f32_e32 v62, 0x4f800000, v63
	s_wait_alu 0xfffd
	v_cndmask_b32_e32 v62, v63, v62, vcc_lo
	s_delay_alu instid0(VALU_DEP_1) | instskip(NEXT) | instid1(TRANS32_DEP_1)
	v_sqrt_f32_e32 v63, v62
	v_add_nc_u32_e32 v64, -1, v63
	s_delay_alu instid0(VALU_DEP_1) | instskip(NEXT) | instid1(VALU_DEP_1)
	v_fma_f32 v65, -v64, v63, v62
	v_cmp_ge_f32_e64 s0, 0, v65
	v_add_nc_u32_e32 v65, 1, v63
	s_wait_alu 0xf1ff
	s_delay_alu instid0(VALU_DEP_2) | instskip(NEXT) | instid1(VALU_DEP_2)
	v_cndmask_b32_e64 v64, v63, v64, s0
	v_fma_f32 v63, -v65, v63, v62
	s_delay_alu instid0(VALU_DEP_1) | instskip(SKIP_1) | instid1(VALU_DEP_1)
	v_cmp_lt_f32_e64 s0, 0, v63
	s_wait_alu 0xf1ff
	v_cndmask_b32_e64 v63, v64, v65, s0
	s_delay_alu instid0(VALU_DEP_1) | instskip(NEXT) | instid1(VALU_DEP_1)
	v_mul_f32_e32 v64, 0x37800000, v63
	v_cndmask_b32_e32 v63, v63, v64, vcc_lo
	v_cmp_class_f32_e64 vcc_lo, v62, 0x260
	s_wait_alu 0xfffd
	s_delay_alu instid0(VALU_DEP_2) | instskip(NEXT) | instid1(VALU_DEP_1)
	v_cndmask_b32_e32 v62, v63, v62, vcc_lo
	v_sub_f32_e32 v63, v62, v179
	v_fma_f32 v62, -v61, v62, 1.0
	s_delay_alu instid0(VALU_DEP_2) | instskip(SKIP_3) | instid1(VALU_DEP_1)
	v_cmp_gt_f32_e32 vcc_lo, 0, v63
	v_cmp_gt_f32_e64 s0, s29, v63
	s_wait_alu 0xfffd
	v_cndmask_b32_e64 v64, 0, 0x42980000, vcc_lo
	v_fmac_f32_e32 v145, v62, v64
	v_fma_f32 v62, -s31, v63, 1.0
	s_wait_alu 0xf1ff
	v_cndmask_b32_e64 v64, 0, 1.0, s0
	v_cmp_gt_f32_e64 s0, s28, v63
	s_delay_alu instid0(VALU_DEP_3) | instskip(SKIP_1) | instid1(VALU_DEP_1)
	v_cndmask_b32_e64 v62, v62, 1.0, vcc_lo
	s_and_b32 s0, s26, s0
	v_mul_f32_e32 v62, v64, v62
	v_sub_f32_e32 v64, v78, v178
	s_delay_alu instid0(VALU_DEP_2) | instskip(NEXT) | instid1(VALU_DEP_1)
	v_mul_f32_e32 v62, v134, v62
	v_cndmask_b32_e64 v62, v62, -|v62|, s27
	s_delay_alu instid0(VALU_DEP_1) | instskip(SKIP_3) | instid1(VALU_DEP_2)
	v_fmac_f32_e32 v145, 0x42340000, v62
	v_fma_f32 v62, -v132, v63, 1.0
	s_wait_alu 0xfffe
	v_cndmask_b32_e64 v63, 0, 1.0, s0
	v_cndmask_b32_e64 v62, v62, 1.0, vcc_lo
	s_delay_alu instid0(VALU_DEP_2) | instskip(NEXT) | instid1(VALU_DEP_1)
	v_mul_f32_e32 v63, s30, v63
	v_fmac_f32_e32 v145, v62, v63
	v_dual_sub_f32 v63, v77, v177 :: v_dual_sub_f32 v62, v76, v176
	s_delay_alu instid0(VALU_DEP_1) | instskip(NEXT) | instid1(VALU_DEP_1)
	v_mul_f32_e32 v63, v63, v63
	v_fmac_f32_e32 v63, v62, v62
	s_delay_alu instid0(VALU_DEP_1) | instskip(NEXT) | instid1(VALU_DEP_1)
	v_fmac_f32_e32 v63, v64, v64
	v_cmp_gt_f32_e32 vcc_lo, 0xf800000, v63
	v_mul_f32_e32 v62, 0x4f800000, v63
	s_wait_alu 0xfffd
	s_delay_alu instid0(VALU_DEP_1) | instskip(NEXT) | instid1(VALU_DEP_1)
	v_cndmask_b32_e32 v62, v63, v62, vcc_lo
	v_sqrt_f32_e32 v63, v62
	s_delay_alu instid0(TRANS32_DEP_1) | instskip(NEXT) | instid1(VALU_DEP_1)
	v_add_nc_u32_e32 v64, -1, v63
	v_fma_f32 v65, -v64, v63, v62
	s_delay_alu instid0(VALU_DEP_1) | instskip(SKIP_2) | instid1(VALU_DEP_2)
	v_cmp_ge_f32_e64 s0, 0, v65
	v_add_nc_u32_e32 v65, 1, v63
	s_wait_alu 0xf1ff
	v_cndmask_b32_e64 v64, v63, v64, s0
	s_delay_alu instid0(VALU_DEP_2) | instskip(NEXT) | instid1(VALU_DEP_1)
	v_fma_f32 v63, -v65, v63, v62
	v_cmp_lt_f32_e64 s0, 0, v63
	s_wait_alu 0xf1ff
	s_delay_alu instid0(VALU_DEP_1) | instskip(NEXT) | instid1(VALU_DEP_1)
	v_cndmask_b32_e64 v63, v64, v65, s0
	v_mul_f32_e32 v64, 0x37800000, v63
	s_delay_alu instid0(VALU_DEP_1) | instskip(SKIP_2) | instid1(VALU_DEP_2)
	v_cndmask_b32_e32 v63, v63, v64, vcc_lo
	v_cmp_class_f32_e64 vcc_lo, v62, 0x260
	s_wait_alu 0xfffd
	v_cndmask_b32_e32 v62, v63, v62, vcc_lo
	s_delay_alu instid0(VALU_DEP_1) | instskip(SKIP_1) | instid1(VALU_DEP_2)
	v_sub_f32_e32 v63, v62, v179
	v_fma_f32 v62, -v61, v62, 1.0
	v_cmp_gt_f32_e32 vcc_lo, 0, v63
	v_cmp_gt_f32_e64 s0, s29, v63
	s_wait_alu 0xfffd
	v_cndmask_b32_e64 v64, 0, 0x42980000, vcc_lo
	s_delay_alu instid0(VALU_DEP_1) | instskip(SKIP_3) | instid1(VALU_DEP_2)
	v_fmac_f32_e32 v146, v62, v64
	v_fma_f32 v62, -s31, v63, 1.0
	s_wait_alu 0xf1ff
	v_cndmask_b32_e64 v64, 0, 1.0, s0
	v_cndmask_b32_e64 v62, v62, 1.0, vcc_lo
	s_delay_alu instid0(VALU_DEP_1) | instskip(SKIP_2) | instid1(VALU_DEP_3)
	v_mul_f32_e32 v62, v64, v62
	v_cmp_gt_f32_e64 s0, s28, v63
	v_sub_f32_e32 v64, v81, v178
	v_mul_f32_e32 v62, v134, v62
	s_and_b32 s0, s26, s0
	s_delay_alu instid0(VALU_DEP_1) | instskip(NEXT) | instid1(VALU_DEP_1)
	v_cndmask_b32_e64 v62, v62, -|v62|, s27
	v_fmac_f32_e32 v146, 0x42340000, v62
	v_fma_f32 v62, -v132, v63, 1.0
	s_wait_alu 0xfffe
	v_cndmask_b32_e64 v63, 0, 1.0, s0
	s_delay_alu instid0(VALU_DEP_2) | instskip(NEXT) | instid1(VALU_DEP_2)
	v_cndmask_b32_e64 v62, v62, 1.0, vcc_lo
	v_mul_f32_e32 v63, s30, v63
	s_delay_alu instid0(VALU_DEP_1) | instskip(SKIP_1) | instid1(VALU_DEP_2)
	v_dual_fmac_f32 v146, v62, v63 :: v_dual_sub_f32 v63, v80, v177
	v_sub_f32_e32 v62, v79, v176
	v_mul_f32_e32 v63, v63, v63
	s_delay_alu instid0(VALU_DEP_1) | instskip(NEXT) | instid1(VALU_DEP_1)
	v_fmac_f32_e32 v63, v62, v62
	v_fmac_f32_e32 v63, v64, v64
	s_delay_alu instid0(VALU_DEP_1) | instskip(SKIP_2) | instid1(VALU_DEP_1)
	v_cmp_gt_f32_e32 vcc_lo, 0xf800000, v63
	v_mul_f32_e32 v62, 0x4f800000, v63
	s_wait_alu 0xfffd
	v_cndmask_b32_e32 v62, v63, v62, vcc_lo
	s_delay_alu instid0(VALU_DEP_1) | instskip(NEXT) | instid1(TRANS32_DEP_1)
	v_sqrt_f32_e32 v63, v62
	v_add_nc_u32_e32 v64, -1, v63
	s_delay_alu instid0(VALU_DEP_1) | instskip(NEXT) | instid1(VALU_DEP_1)
	v_fma_f32 v65, -v64, v63, v62
	v_cmp_ge_f32_e64 s0, 0, v65
	v_add_nc_u32_e32 v65, 1, v63
	s_wait_alu 0xf1ff
	s_delay_alu instid0(VALU_DEP_2) | instskip(NEXT) | instid1(VALU_DEP_2)
	v_cndmask_b32_e64 v64, v63, v64, s0
	v_fma_f32 v63, -v65, v63, v62
	s_delay_alu instid0(VALU_DEP_1) | instskip(SKIP_1) | instid1(VALU_DEP_1)
	v_cmp_lt_f32_e64 s0, 0, v63
	s_wait_alu 0xf1ff
	v_cndmask_b32_e64 v63, v64, v65, s0
	s_delay_alu instid0(VALU_DEP_1) | instskip(NEXT) | instid1(VALU_DEP_1)
	v_mul_f32_e32 v64, 0x37800000, v63
	v_cndmask_b32_e32 v63, v63, v64, vcc_lo
	v_cmp_class_f32_e64 vcc_lo, v62, 0x260
	s_wait_alu 0xfffd
	s_delay_alu instid0(VALU_DEP_2) | instskip(NEXT) | instid1(VALU_DEP_1)
	v_cndmask_b32_e32 v62, v63, v62, vcc_lo
	v_sub_f32_e32 v63, v62, v179
	v_fma_f32 v62, -v61, v62, 1.0
	s_delay_alu instid0(VALU_DEP_2) | instskip(SKIP_3) | instid1(VALU_DEP_1)
	v_cmp_gt_f32_e32 vcc_lo, 0, v63
	v_cmp_gt_f32_e64 s0, s29, v63
	s_wait_alu 0xfffd
	v_cndmask_b32_e64 v64, 0, 0x42980000, vcc_lo
	v_fmac_f32_e32 v147, v62, v64
	v_fma_f32 v62, -s31, v63, 1.0
	s_wait_alu 0xf1ff
	v_cndmask_b32_e64 v64, 0, 1.0, s0
	v_cmp_gt_f32_e64 s0, s28, v63
	s_delay_alu instid0(VALU_DEP_3) | instskip(SKIP_1) | instid1(VALU_DEP_1)
	v_cndmask_b32_e64 v62, v62, 1.0, vcc_lo
	s_and_b32 s0, s26, s0
	v_mul_f32_e32 v62, v64, v62
	v_sub_f32_e32 v64, v84, v178
	s_delay_alu instid0(VALU_DEP_2) | instskip(NEXT) | instid1(VALU_DEP_1)
	v_mul_f32_e32 v62, v134, v62
	v_cndmask_b32_e64 v62, v62, -|v62|, s27
	s_delay_alu instid0(VALU_DEP_1) | instskip(SKIP_3) | instid1(VALU_DEP_2)
	v_fmac_f32_e32 v147, 0x42340000, v62
	v_fma_f32 v62, -v132, v63, 1.0
	s_wait_alu 0xfffe
	v_cndmask_b32_e64 v63, 0, 1.0, s0
	v_cndmask_b32_e64 v62, v62, 1.0, vcc_lo
	s_delay_alu instid0(VALU_DEP_2) | instskip(NEXT) | instid1(VALU_DEP_1)
	v_mul_f32_e32 v63, s30, v63
	v_fmac_f32_e32 v147, v62, v63
	v_dual_sub_f32 v63, v83, v177 :: v_dual_sub_f32 v62, v82, v176
	s_delay_alu instid0(VALU_DEP_1) | instskip(NEXT) | instid1(VALU_DEP_1)
	v_mul_f32_e32 v63, v63, v63
	v_fmac_f32_e32 v63, v62, v62
	s_delay_alu instid0(VALU_DEP_1) | instskip(NEXT) | instid1(VALU_DEP_1)
	v_fmac_f32_e32 v63, v64, v64
	v_cmp_gt_f32_e32 vcc_lo, 0xf800000, v63
	v_mul_f32_e32 v62, 0x4f800000, v63
	s_wait_alu 0xfffd
	s_delay_alu instid0(VALU_DEP_1) | instskip(NEXT) | instid1(VALU_DEP_1)
	v_cndmask_b32_e32 v62, v63, v62, vcc_lo
	v_sqrt_f32_e32 v63, v62
	s_delay_alu instid0(TRANS32_DEP_1) | instskip(NEXT) | instid1(VALU_DEP_1)
	v_add_nc_u32_e32 v64, -1, v63
	v_fma_f32 v65, -v64, v63, v62
	s_delay_alu instid0(VALU_DEP_1) | instskip(SKIP_2) | instid1(VALU_DEP_2)
	v_cmp_ge_f32_e64 s0, 0, v65
	v_add_nc_u32_e32 v65, 1, v63
	s_wait_alu 0xf1ff
	v_cndmask_b32_e64 v64, v63, v64, s0
	s_delay_alu instid0(VALU_DEP_2) | instskip(NEXT) | instid1(VALU_DEP_1)
	v_fma_f32 v63, -v65, v63, v62
	v_cmp_lt_f32_e64 s0, 0, v63
	s_wait_alu 0xf1ff
	s_delay_alu instid0(VALU_DEP_1) | instskip(NEXT) | instid1(VALU_DEP_1)
	v_cndmask_b32_e64 v63, v64, v65, s0
	v_mul_f32_e32 v64, 0x37800000, v63
	s_delay_alu instid0(VALU_DEP_1) | instskip(SKIP_2) | instid1(VALU_DEP_2)
	v_cndmask_b32_e32 v63, v63, v64, vcc_lo
	v_cmp_class_f32_e64 vcc_lo, v62, 0x260
	s_wait_alu 0xfffd
	v_cndmask_b32_e32 v62, v63, v62, vcc_lo
	s_delay_alu instid0(VALU_DEP_1) | instskip(SKIP_1) | instid1(VALU_DEP_2)
	v_sub_f32_e32 v63, v62, v179
	v_fma_f32 v62, -v61, v62, 1.0
	v_cmp_gt_f32_e32 vcc_lo, 0, v63
	v_cmp_gt_f32_e64 s0, s29, v63
	s_wait_alu 0xfffd
	v_cndmask_b32_e64 v64, 0, 0x42980000, vcc_lo
	s_delay_alu instid0(VALU_DEP_1) | instskip(SKIP_4) | instid1(VALU_DEP_3)
	v_fmac_f32_e32 v140, v62, v64
	v_fma_f32 v62, -s31, v63, 1.0
	s_wait_alu 0xf1ff
	v_cndmask_b32_e64 v64, 0, 1.0, s0
	v_cmp_gt_f32_e64 s0, s28, v63
	v_cndmask_b32_e64 v62, v62, 1.0, vcc_lo
	s_and_b32 s0, s26, s0
	s_delay_alu instid0(VALU_DEP_1) | instskip(SKIP_1) | instid1(VALU_DEP_2)
	v_mul_f32_e32 v62, v64, v62
	v_sub_f32_e32 v64, v87, v178
	v_mul_f32_e32 v62, v134, v62
	s_delay_alu instid0(VALU_DEP_1) | instskip(NEXT) | instid1(VALU_DEP_1)
	v_cndmask_b32_e64 v62, v62, -|v62|, s27
	v_fmac_f32_e32 v140, 0x42340000, v62
	v_fma_f32 v62, -v132, v63, 1.0
	s_wait_alu 0xfffe
	v_cndmask_b32_e64 v63, 0, 1.0, s0
	s_delay_alu instid0(VALU_DEP_2) | instskip(NEXT) | instid1(VALU_DEP_2)
	v_cndmask_b32_e64 v62, v62, 1.0, vcc_lo
	v_mul_f32_e32 v63, s30, v63
	s_delay_alu instid0(VALU_DEP_1) | instskip(SKIP_1) | instid1(VALU_DEP_1)
	v_fmac_f32_e32 v140, v62, v63
	v_dual_sub_f32 v63, v86, v177 :: v_dual_sub_f32 v62, v85, v176
	v_mul_f32_e32 v63, v63, v63
	s_delay_alu instid0(VALU_DEP_1) | instskip(NEXT) | instid1(VALU_DEP_1)
	v_fmac_f32_e32 v63, v62, v62
	v_fmac_f32_e32 v63, v64, v64
	s_delay_alu instid0(VALU_DEP_1) | instskip(SKIP_2) | instid1(VALU_DEP_1)
	v_cmp_gt_f32_e32 vcc_lo, 0xf800000, v63
	v_mul_f32_e32 v62, 0x4f800000, v63
	s_wait_alu 0xfffd
	v_cndmask_b32_e32 v62, v63, v62, vcc_lo
	s_delay_alu instid0(VALU_DEP_1) | instskip(NEXT) | instid1(TRANS32_DEP_1)
	v_sqrt_f32_e32 v63, v62
	v_add_nc_u32_e32 v64, -1, v63
	s_delay_alu instid0(VALU_DEP_1) | instskip(NEXT) | instid1(VALU_DEP_1)
	v_fma_f32 v65, -v64, v63, v62
	v_cmp_ge_f32_e64 s0, 0, v65
	v_add_nc_u32_e32 v65, 1, v63
	s_wait_alu 0xf1ff
	s_delay_alu instid0(VALU_DEP_2) | instskip(NEXT) | instid1(VALU_DEP_2)
	v_cndmask_b32_e64 v64, v63, v64, s0
	v_fma_f32 v63, -v65, v63, v62
	s_delay_alu instid0(VALU_DEP_1) | instskip(SKIP_1) | instid1(VALU_DEP_1)
	v_cmp_lt_f32_e64 s0, 0, v63
	s_wait_alu 0xf1ff
	v_cndmask_b32_e64 v63, v64, v65, s0
	s_delay_alu instid0(VALU_DEP_1) | instskip(NEXT) | instid1(VALU_DEP_1)
	v_mul_f32_e32 v64, 0x37800000, v63
	v_cndmask_b32_e32 v63, v63, v64, vcc_lo
	v_cmp_class_f32_e64 vcc_lo, v62, 0x260
	s_wait_alu 0xfffd
	s_delay_alu instid0(VALU_DEP_2) | instskip(NEXT) | instid1(VALU_DEP_1)
	v_cndmask_b32_e32 v62, v63, v62, vcc_lo
	v_sub_f32_e32 v63, v62, v179
	v_fma_f32 v62, -v61, v62, 1.0
	s_delay_alu instid0(VALU_DEP_2) | instskip(SKIP_3) | instid1(VALU_DEP_1)
	v_cmp_gt_f32_e32 vcc_lo, 0, v63
	v_cmp_gt_f32_e64 s0, s29, v63
	s_wait_alu 0xfffd
	v_cndmask_b32_e64 v64, 0, 0x42980000, vcc_lo
	v_fmac_f32_e32 v141, v62, v64
	v_fma_f32 v62, -s31, v63, 1.0
	s_wait_alu 0xf1ff
	v_cndmask_b32_e64 v64, 0, 1.0, s0
	v_cmp_gt_f32_e64 s0, s28, v63
	s_delay_alu instid0(VALU_DEP_3) | instskip(SKIP_1) | instid1(VALU_DEP_1)
	v_cndmask_b32_e64 v62, v62, 1.0, vcc_lo
	s_and_b32 s0, s26, s0
	v_mul_f32_e32 v62, v64, v62
	v_sub_f32_e32 v64, v90, v178
	s_delay_alu instid0(VALU_DEP_2) | instskip(NEXT) | instid1(VALU_DEP_1)
	v_mul_f32_e32 v62, v134, v62
	v_cndmask_b32_e64 v62, v62, -|v62|, s27
	s_delay_alu instid0(VALU_DEP_1) | instskip(SKIP_3) | instid1(VALU_DEP_2)
	v_fmac_f32_e32 v141, 0x42340000, v62
	v_fma_f32 v62, -v132, v63, 1.0
	s_wait_alu 0xfffe
	v_cndmask_b32_e64 v63, 0, 1.0, s0
	v_cndmask_b32_e64 v62, v62, 1.0, vcc_lo
	s_delay_alu instid0(VALU_DEP_2) | instskip(NEXT) | instid1(VALU_DEP_1)
	v_mul_f32_e32 v63, s30, v63
	v_fmac_f32_e32 v141, v62, v63
	v_dual_sub_f32 v63, v89, v177 :: v_dual_sub_f32 v62, v88, v176
	s_delay_alu instid0(VALU_DEP_1) | instskip(NEXT) | instid1(VALU_DEP_1)
	v_mul_f32_e32 v63, v63, v63
	v_fmac_f32_e32 v63, v62, v62
	s_delay_alu instid0(VALU_DEP_1) | instskip(NEXT) | instid1(VALU_DEP_1)
	v_fmac_f32_e32 v63, v64, v64
	v_cmp_gt_f32_e32 vcc_lo, 0xf800000, v63
	v_mul_f32_e32 v62, 0x4f800000, v63
	s_wait_alu 0xfffd
	s_delay_alu instid0(VALU_DEP_1) | instskip(NEXT) | instid1(VALU_DEP_1)
	v_cndmask_b32_e32 v62, v63, v62, vcc_lo
	v_sqrt_f32_e32 v63, v62
	s_delay_alu instid0(TRANS32_DEP_1) | instskip(NEXT) | instid1(VALU_DEP_1)
	v_add_nc_u32_e32 v64, -1, v63
	v_fma_f32 v65, -v64, v63, v62
	s_delay_alu instid0(VALU_DEP_1) | instskip(SKIP_2) | instid1(VALU_DEP_2)
	v_cmp_ge_f32_e64 s0, 0, v65
	v_add_nc_u32_e32 v65, 1, v63
	s_wait_alu 0xf1ff
	v_cndmask_b32_e64 v64, v63, v64, s0
	s_delay_alu instid0(VALU_DEP_2) | instskip(NEXT) | instid1(VALU_DEP_1)
	v_fma_f32 v63, -v65, v63, v62
	v_cmp_lt_f32_e64 s0, 0, v63
	s_wait_alu 0xf1ff
	s_delay_alu instid0(VALU_DEP_1) | instskip(NEXT) | instid1(VALU_DEP_1)
	v_cndmask_b32_e64 v63, v64, v65, s0
	v_mul_f32_e32 v64, 0x37800000, v63
	s_delay_alu instid0(VALU_DEP_1) | instskip(SKIP_2) | instid1(VALU_DEP_2)
	v_cndmask_b32_e32 v63, v63, v64, vcc_lo
	v_cmp_class_f32_e64 vcc_lo, v62, 0x260
	s_wait_alu 0xfffd
	v_cndmask_b32_e32 v62, v63, v62, vcc_lo
	s_delay_alu instid0(VALU_DEP_1) | instskip(SKIP_1) | instid1(VALU_DEP_2)
	v_sub_f32_e32 v63, v62, v179
	v_fma_f32 v62, -v61, v62, 1.0
	v_cmp_gt_f32_e32 vcc_lo, 0, v63
	v_cmp_gt_f32_e64 s0, s29, v63
	s_wait_alu 0xfffd
	v_cndmask_b32_e64 v64, 0, 0x42980000, vcc_lo
	s_delay_alu instid0(VALU_DEP_1) | instskip(SKIP_3) | instid1(VALU_DEP_2)
	v_fmac_f32_e32 v142, v62, v64
	v_fma_f32 v62, -s31, v63, 1.0
	s_wait_alu 0xf1ff
	v_cndmask_b32_e64 v64, 0, 1.0, s0
	v_cndmask_b32_e64 v62, v62, 1.0, vcc_lo
	s_delay_alu instid0(VALU_DEP_1) | instskip(SKIP_2) | instid1(VALU_DEP_3)
	v_mul_f32_e32 v62, v64, v62
	v_cmp_gt_f32_e64 s0, s28, v63
	v_sub_f32_e32 v64, v93, v178
	v_mul_f32_e32 v62, v134, v62
	s_and_b32 s0, s26, s0
	s_delay_alu instid0(VALU_DEP_1) | instskip(NEXT) | instid1(VALU_DEP_1)
	v_cndmask_b32_e64 v62, v62, -|v62|, s27
	v_fmac_f32_e32 v142, 0x42340000, v62
	v_fma_f32 v62, -v132, v63, 1.0
	s_wait_alu 0xfffe
	v_cndmask_b32_e64 v63, 0, 1.0, s0
	s_delay_alu instid0(VALU_DEP_2) | instskip(NEXT) | instid1(VALU_DEP_2)
	v_cndmask_b32_e64 v62, v62, 1.0, vcc_lo
	v_mul_f32_e32 v63, s30, v63
	s_delay_alu instid0(VALU_DEP_1) | instskip(SKIP_1) | instid1(VALU_DEP_2)
	v_dual_fmac_f32 v142, v62, v63 :: v_dual_sub_f32 v63, v92, v177
	v_sub_f32_e32 v62, v91, v176
	v_mul_f32_e32 v63, v63, v63
	s_delay_alu instid0(VALU_DEP_1) | instskip(NEXT) | instid1(VALU_DEP_1)
	v_fmac_f32_e32 v63, v62, v62
	v_fmac_f32_e32 v63, v64, v64
	s_delay_alu instid0(VALU_DEP_1) | instskip(SKIP_2) | instid1(VALU_DEP_1)
	v_cmp_gt_f32_e32 vcc_lo, 0xf800000, v63
	v_mul_f32_e32 v62, 0x4f800000, v63
	s_wait_alu 0xfffd
	v_cndmask_b32_e32 v62, v63, v62, vcc_lo
	s_delay_alu instid0(VALU_DEP_1) | instskip(NEXT) | instid1(TRANS32_DEP_1)
	v_sqrt_f32_e32 v63, v62
	v_add_nc_u32_e32 v64, -1, v63
	s_delay_alu instid0(VALU_DEP_1) | instskip(NEXT) | instid1(VALU_DEP_1)
	v_fma_f32 v65, -v64, v63, v62
	v_cmp_ge_f32_e64 s0, 0, v65
	v_add_nc_u32_e32 v65, 1, v63
	s_wait_alu 0xf1ff
	s_delay_alu instid0(VALU_DEP_2) | instskip(NEXT) | instid1(VALU_DEP_2)
	v_cndmask_b32_e64 v64, v63, v64, s0
	v_fma_f32 v63, -v65, v63, v62
	s_delay_alu instid0(VALU_DEP_1) | instskip(SKIP_1) | instid1(VALU_DEP_1)
	v_cmp_lt_f32_e64 s0, 0, v63
	s_wait_alu 0xf1ff
	v_cndmask_b32_e64 v63, v64, v65, s0
	s_delay_alu instid0(VALU_DEP_1) | instskip(NEXT) | instid1(VALU_DEP_1)
	v_mul_f32_e32 v64, 0x37800000, v63
	v_cndmask_b32_e32 v63, v63, v64, vcc_lo
	v_cmp_class_f32_e64 vcc_lo, v62, 0x260
	s_wait_alu 0xfffd
	s_delay_alu instid0(VALU_DEP_2) | instskip(NEXT) | instid1(VALU_DEP_1)
	v_cndmask_b32_e32 v62, v63, v62, vcc_lo
	v_sub_f32_e32 v63, v62, v179
	v_fma_f32 v62, -v61, v62, 1.0
	s_delay_alu instid0(VALU_DEP_2) | instskip(SKIP_3) | instid1(VALU_DEP_1)
	v_cmp_gt_f32_e32 vcc_lo, 0, v63
	v_cmp_gt_f32_e64 s0, s29, v63
	s_wait_alu 0xfffd
	v_cndmask_b32_e64 v64, 0, 0x42980000, vcc_lo
	v_fmac_f32_e32 v143, v62, v64
	v_fma_f32 v62, -s31, v63, 1.0
	s_wait_alu 0xf1ff
	v_cndmask_b32_e64 v64, 0, 1.0, s0
	v_cmp_gt_f32_e64 s0, s28, v63
	s_delay_alu instid0(VALU_DEP_3) | instskip(SKIP_1) | instid1(VALU_DEP_1)
	v_cndmask_b32_e64 v62, v62, 1.0, vcc_lo
	s_and_b32 s0, s26, s0
	v_mul_f32_e32 v62, v64, v62
	v_sub_f32_e32 v64, v96, v178
	s_delay_alu instid0(VALU_DEP_2) | instskip(NEXT) | instid1(VALU_DEP_1)
	v_mul_f32_e32 v62, v134, v62
	v_cndmask_b32_e64 v62, v62, -|v62|, s27
	s_delay_alu instid0(VALU_DEP_1) | instskip(SKIP_3) | instid1(VALU_DEP_2)
	v_fmac_f32_e32 v143, 0x42340000, v62
	v_fma_f32 v62, -v132, v63, 1.0
	s_wait_alu 0xfffe
	v_cndmask_b32_e64 v63, 0, 1.0, s0
	v_cndmask_b32_e64 v62, v62, 1.0, vcc_lo
	s_delay_alu instid0(VALU_DEP_2) | instskip(NEXT) | instid1(VALU_DEP_1)
	v_mul_f32_e32 v63, s30, v63
	v_fmac_f32_e32 v143, v62, v63
	v_dual_sub_f32 v63, v95, v177 :: v_dual_sub_f32 v62, v94, v176
	s_delay_alu instid0(VALU_DEP_1) | instskip(NEXT) | instid1(VALU_DEP_1)
	v_mul_f32_e32 v63, v63, v63
	v_fmac_f32_e32 v63, v62, v62
	s_delay_alu instid0(VALU_DEP_1) | instskip(NEXT) | instid1(VALU_DEP_1)
	v_fmac_f32_e32 v63, v64, v64
	v_cmp_gt_f32_e32 vcc_lo, 0xf800000, v63
	v_mul_f32_e32 v62, 0x4f800000, v63
	s_wait_alu 0xfffd
	s_delay_alu instid0(VALU_DEP_1) | instskip(NEXT) | instid1(VALU_DEP_1)
	v_cndmask_b32_e32 v62, v63, v62, vcc_lo
	v_sqrt_f32_e32 v63, v62
	s_delay_alu instid0(TRANS32_DEP_1) | instskip(NEXT) | instid1(VALU_DEP_1)
	v_add_nc_u32_e32 v64, -1, v63
	v_fma_f32 v65, -v64, v63, v62
	s_delay_alu instid0(VALU_DEP_1) | instskip(SKIP_2) | instid1(VALU_DEP_2)
	v_cmp_ge_f32_e64 s0, 0, v65
	v_add_nc_u32_e32 v65, 1, v63
	s_wait_alu 0xf1ff
	v_cndmask_b32_e64 v64, v63, v64, s0
	s_delay_alu instid0(VALU_DEP_2) | instskip(NEXT) | instid1(VALU_DEP_1)
	v_fma_f32 v63, -v65, v63, v62
	v_cmp_lt_f32_e64 s0, 0, v63
	s_wait_alu 0xf1ff
	s_delay_alu instid0(VALU_DEP_1) | instskip(NEXT) | instid1(VALU_DEP_1)
	v_cndmask_b32_e64 v63, v64, v65, s0
	v_mul_f32_e32 v64, 0x37800000, v63
	s_delay_alu instid0(VALU_DEP_1) | instskip(SKIP_2) | instid1(VALU_DEP_2)
	v_cndmask_b32_e32 v63, v63, v64, vcc_lo
	v_cmp_class_f32_e64 vcc_lo, v62, 0x260
	s_wait_alu 0xfffd
	v_cndmask_b32_e32 v62, v63, v62, vcc_lo
	s_delay_alu instid0(VALU_DEP_1) | instskip(SKIP_1) | instid1(VALU_DEP_2)
	v_sub_f32_e32 v63, v62, v179
	v_fma_f32 v62, -v61, v62, 1.0
	v_cmp_gt_f32_e32 vcc_lo, 0, v63
	v_cmp_gt_f32_e64 s0, s29, v63
	s_wait_alu 0xfffd
	v_cndmask_b32_e64 v64, 0, 0x42980000, vcc_lo
	s_delay_alu instid0(VALU_DEP_1) | instskip(SKIP_4) | instid1(VALU_DEP_3)
	v_fmac_f32_e32 v136, v62, v64
	v_fma_f32 v62, -s31, v63, 1.0
	s_wait_alu 0xf1ff
	v_cndmask_b32_e64 v64, 0, 1.0, s0
	v_cmp_gt_f32_e64 s0, s28, v63
	v_cndmask_b32_e64 v62, v62, 1.0, vcc_lo
	s_and_b32 s0, s26, s0
	s_delay_alu instid0(VALU_DEP_1) | instskip(SKIP_1) | instid1(VALU_DEP_2)
	v_mul_f32_e32 v62, v64, v62
	v_sub_f32_e32 v64, v99, v178
	v_mul_f32_e32 v62, v134, v62
	s_delay_alu instid0(VALU_DEP_1) | instskip(NEXT) | instid1(VALU_DEP_1)
	v_cndmask_b32_e64 v62, v62, -|v62|, s27
	v_fmac_f32_e32 v136, 0x42340000, v62
	v_fma_f32 v62, -v132, v63, 1.0
	s_wait_alu 0xfffe
	v_cndmask_b32_e64 v63, 0, 1.0, s0
	s_delay_alu instid0(VALU_DEP_2) | instskip(NEXT) | instid1(VALU_DEP_2)
	v_cndmask_b32_e64 v62, v62, 1.0, vcc_lo
	v_mul_f32_e32 v63, s30, v63
	s_delay_alu instid0(VALU_DEP_1) | instskip(SKIP_1) | instid1(VALU_DEP_1)
	v_fmac_f32_e32 v136, v62, v63
	v_dual_sub_f32 v63, v98, v177 :: v_dual_sub_f32 v62, v97, v176
	v_mul_f32_e32 v63, v63, v63
	s_delay_alu instid0(VALU_DEP_1) | instskip(NEXT) | instid1(VALU_DEP_1)
	v_fmac_f32_e32 v63, v62, v62
	v_fmac_f32_e32 v63, v64, v64
	s_delay_alu instid0(VALU_DEP_1) | instskip(SKIP_2) | instid1(VALU_DEP_1)
	v_cmp_gt_f32_e32 vcc_lo, 0xf800000, v63
	v_mul_f32_e32 v62, 0x4f800000, v63
	s_wait_alu 0xfffd
	v_cndmask_b32_e32 v62, v63, v62, vcc_lo
	s_delay_alu instid0(VALU_DEP_1) | instskip(NEXT) | instid1(TRANS32_DEP_1)
	v_sqrt_f32_e32 v63, v62
	v_add_nc_u32_e32 v64, -1, v63
	s_delay_alu instid0(VALU_DEP_1) | instskip(NEXT) | instid1(VALU_DEP_1)
	v_fma_f32 v65, -v64, v63, v62
	v_cmp_ge_f32_e64 s0, 0, v65
	v_add_nc_u32_e32 v65, 1, v63
	s_wait_alu 0xf1ff
	s_delay_alu instid0(VALU_DEP_2) | instskip(NEXT) | instid1(VALU_DEP_2)
	v_cndmask_b32_e64 v64, v63, v64, s0
	v_fma_f32 v63, -v65, v63, v62
	s_delay_alu instid0(VALU_DEP_1) | instskip(SKIP_1) | instid1(VALU_DEP_1)
	v_cmp_lt_f32_e64 s0, 0, v63
	s_wait_alu 0xf1ff
	v_cndmask_b32_e64 v63, v64, v65, s0
	s_delay_alu instid0(VALU_DEP_1) | instskip(NEXT) | instid1(VALU_DEP_1)
	v_mul_f32_e32 v64, 0x37800000, v63
	v_cndmask_b32_e32 v63, v63, v64, vcc_lo
	v_cmp_class_f32_e64 vcc_lo, v62, 0x260
	s_wait_alu 0xfffd
	s_delay_alu instid0(VALU_DEP_2) | instskip(NEXT) | instid1(VALU_DEP_1)
	v_cndmask_b32_e32 v62, v63, v62, vcc_lo
	v_sub_f32_e32 v63, v62, v179
	v_fma_f32 v62, -v61, v62, 1.0
	s_delay_alu instid0(VALU_DEP_2) | instskip(SKIP_3) | instid1(VALU_DEP_1)
	v_cmp_gt_f32_e32 vcc_lo, 0, v63
	v_cmp_gt_f32_e64 s0, s29, v63
	s_wait_alu 0xfffd
	v_cndmask_b32_e64 v64, 0, 0x42980000, vcc_lo
	v_fmac_f32_e32 v137, v62, v64
	v_fma_f32 v62, -s31, v63, 1.0
	s_wait_alu 0xf1ff
	v_cndmask_b32_e64 v64, 0, 1.0, s0
	v_cmp_gt_f32_e64 s0, s28, v63
	s_delay_alu instid0(VALU_DEP_3) | instskip(SKIP_1) | instid1(VALU_DEP_1)
	v_cndmask_b32_e64 v62, v62, 1.0, vcc_lo
	s_and_b32 s0, s26, s0
	v_mul_f32_e32 v62, v64, v62
	v_sub_f32_e32 v64, v102, v178
	s_delay_alu instid0(VALU_DEP_2) | instskip(NEXT) | instid1(VALU_DEP_1)
	v_mul_f32_e32 v62, v134, v62
	v_cndmask_b32_e64 v62, v62, -|v62|, s27
	s_delay_alu instid0(VALU_DEP_1) | instskip(SKIP_3) | instid1(VALU_DEP_2)
	v_fmac_f32_e32 v137, 0x42340000, v62
	v_fma_f32 v62, -v132, v63, 1.0
	s_wait_alu 0xfffe
	v_cndmask_b32_e64 v63, 0, 1.0, s0
	v_cndmask_b32_e64 v62, v62, 1.0, vcc_lo
	s_delay_alu instid0(VALU_DEP_2) | instskip(NEXT) | instid1(VALU_DEP_1)
	v_mul_f32_e32 v63, s30, v63
	v_fmac_f32_e32 v137, v62, v63
	v_dual_sub_f32 v63, v101, v177 :: v_dual_sub_f32 v62, v100, v176
	v_sub_f32_e32 v176, v103, v176
	s_delay_alu instid0(VALU_DEP_2) | instskip(NEXT) | instid1(VALU_DEP_1)
	v_mul_f32_e32 v63, v63, v63
	v_fmac_f32_e32 v63, v62, v62
	s_delay_alu instid0(VALU_DEP_1) | instskip(NEXT) | instid1(VALU_DEP_1)
	v_fmac_f32_e32 v63, v64, v64
	v_cmp_gt_f32_e32 vcc_lo, 0xf800000, v63
	v_mul_f32_e32 v62, 0x4f800000, v63
	s_wait_alu 0xfffd
	s_delay_alu instid0(VALU_DEP_1) | instskip(NEXT) | instid1(VALU_DEP_1)
	v_cndmask_b32_e32 v62, v63, v62, vcc_lo
	v_sqrt_f32_e32 v63, v62
	s_delay_alu instid0(TRANS32_DEP_1) | instskip(NEXT) | instid1(VALU_DEP_1)
	v_add_nc_u32_e32 v64, -1, v63
	v_fma_f32 v65, -v64, v63, v62
	s_delay_alu instid0(VALU_DEP_1) | instskip(SKIP_2) | instid1(VALU_DEP_2)
	v_cmp_ge_f32_e64 s0, 0, v65
	v_add_nc_u32_e32 v65, 1, v63
	s_wait_alu 0xf1ff
	v_cndmask_b32_e64 v64, v63, v64, s0
	s_delay_alu instid0(VALU_DEP_2) | instskip(NEXT) | instid1(VALU_DEP_1)
	v_fma_f32 v63, -v65, v63, v62
	v_cmp_lt_f32_e64 s0, 0, v63
	s_wait_alu 0xf1ff
	s_delay_alu instid0(VALU_DEP_1) | instskip(NEXT) | instid1(VALU_DEP_1)
	v_cndmask_b32_e64 v63, v64, v65, s0
	v_mul_f32_e32 v64, 0x37800000, v63
	s_delay_alu instid0(VALU_DEP_1) | instskip(SKIP_2) | instid1(VALU_DEP_2)
	v_cndmask_b32_e32 v63, v63, v64, vcc_lo
	v_cmp_class_f32_e64 vcc_lo, v62, 0x260
	s_wait_alu 0xfffd
	v_cndmask_b32_e32 v62, v63, v62, vcc_lo
	s_delay_alu instid0(VALU_DEP_1) | instskip(SKIP_1) | instid1(VALU_DEP_2)
	v_sub_f32_e32 v63, v62, v179
	v_fma_f32 v62, -v61, v62, 1.0
	v_cmp_gt_f32_e32 vcc_lo, 0, v63
	v_cmp_gt_f32_e64 s0, s29, v63
	s_wait_alu 0xfffd
	v_cndmask_b32_e64 v64, 0, 0x42980000, vcc_lo
	s_delay_alu instid0(VALU_DEP_1) | instskip(SKIP_3) | instid1(VALU_DEP_2)
	v_fmac_f32_e32 v138, v62, v64
	v_fma_f32 v62, -s31, v63, 1.0
	s_wait_alu 0xf1ff
	v_cndmask_b32_e64 v64, 0, 1.0, s0
	v_cndmask_b32_e64 v62, v62, 1.0, vcc_lo
	s_delay_alu instid0(VALU_DEP_1) | instskip(SKIP_1) | instid1(VALU_DEP_2)
	v_mul_f32_e32 v62, v64, v62
	v_cmp_gt_f32_e64 s0, s28, v63
	v_mul_f32_e32 v62, v134, v62
	s_and_b32 s0, s26, s0
	s_delay_alu instid0(VALU_DEP_1) | instskip(NEXT) | instid1(VALU_DEP_1)
	v_cndmask_b32_e64 v62, v62, -|v62|, s27
	v_fmac_f32_e32 v138, 0x42340000, v62
	v_fma_f32 v62, -v132, v63, 1.0
	s_wait_alu 0xfffe
	v_cndmask_b32_e64 v63, 0, 1.0, s0
	s_delay_alu instid0(VALU_DEP_2) | instskip(NEXT) | instid1(VALU_DEP_2)
	v_cndmask_b32_e64 v62, v62, 1.0, vcc_lo
	v_mul_f32_e32 v63, s30, v63
	s_delay_alu instid0(VALU_DEP_1) | instskip(SKIP_1) | instid1(VALU_DEP_1)
	v_fmac_f32_e32 v138, v62, v63
	v_dual_sub_f32 v62, v104, v177 :: v_dual_sub_f32 v177, v105, v178
	v_mul_f32_e32 v62, v62, v62
	s_delay_alu instid0(VALU_DEP_1) | instskip(NEXT) | instid1(VALU_DEP_1)
	v_fmac_f32_e32 v62, v176, v176
	v_fmac_f32_e32 v62, v177, v177
	s_delay_alu instid0(VALU_DEP_1) | instskip(SKIP_2) | instid1(VALU_DEP_1)
	v_cmp_gt_f32_e32 vcc_lo, 0xf800000, v62
	v_mul_f32_e32 v63, 0x4f800000, v62
	s_wait_alu 0xfffd
	v_cndmask_b32_e32 v62, v62, v63, vcc_lo
	s_delay_alu instid0(VALU_DEP_1) | instskip(NEXT) | instid1(TRANS32_DEP_1)
	v_sqrt_f32_e32 v63, v62
	v_add_nc_u32_e32 v64, -1, v63
	s_delay_alu instid0(VALU_DEP_1) | instskip(NEXT) | instid1(VALU_DEP_1)
	v_fma_f32 v65, -v64, v63, v62
	v_cmp_ge_f32_e64 s0, 0, v65
	v_add_nc_u32_e32 v65, 1, v63
	s_wait_alu 0xf1ff
	s_delay_alu instid0(VALU_DEP_2) | instskip(NEXT) | instid1(VALU_DEP_2)
	v_cndmask_b32_e64 v64, v63, v64, s0
	v_fma_f32 v63, -v65, v63, v62
	s_delay_alu instid0(VALU_DEP_1) | instskip(SKIP_1) | instid1(VALU_DEP_1)
	v_cmp_lt_f32_e64 s0, 0, v63
	s_wait_alu 0xf1ff
	v_cndmask_b32_e64 v63, v64, v65, s0
	s_delay_alu instid0(VALU_DEP_1) | instskip(NEXT) | instid1(VALU_DEP_1)
	v_mul_f32_e32 v64, 0x37800000, v63
	v_cndmask_b32_e32 v63, v63, v64, vcc_lo
	v_cmp_class_f32_e64 vcc_lo, v62, 0x260
	s_wait_alu 0xfffd
	s_delay_alu instid0(VALU_DEP_2) | instskip(NEXT) | instid1(VALU_DEP_1)
	v_cndmask_b32_e32 v63, v63, v62, vcc_lo
	v_sub_f32_e32 v62, v63, v179
	v_fma_f32 v61, -v61, v63, 1.0
	s_delay_alu instid0(VALU_DEP_2) | instskip(SKIP_3) | instid1(VALU_DEP_1)
	v_cmp_gt_f32_e32 vcc_lo, 0, v62
	v_cmp_gt_f32_e64 s0, s29, v62
	s_wait_alu 0xfffd
	v_cndmask_b32_e64 v63, 0, 0x42980000, vcc_lo
	v_fmac_f32_e32 v139, v61, v63
	v_fma_f32 v61, -s31, v62, 1.0
	s_wait_alu 0xf1ff
	v_cndmask_b32_e64 v63, 0, 1.0, s0
	v_cmp_gt_f32_e64 s0, s28, v62
	s_delay_alu instid0(VALU_DEP_3) | instskip(SKIP_2) | instid1(VALU_DEP_1)
	v_cndmask_b32_e64 v61, v61, 1.0, vcc_lo
	s_and_b32 s0, s26, s0
	s_cmp_lg_u32 s25, 0
	v_mul_f32_e32 v61, v63, v61
	v_mov_b32_e32 v63, 0
	s_delay_alu instid0(VALU_DEP_2) | instskip(NEXT) | instid1(VALU_DEP_1)
	v_mul_f32_e32 v61, v134, v61
	v_cndmask_b32_e64 v61, v61, -|v61|, s27
	s_delay_alu instid0(VALU_DEP_1) | instskip(SKIP_3) | instid1(VALU_DEP_2)
	v_fmac_f32_e32 v139, 0x42340000, v61
	v_fma_f32 v61, -v132, v62, 1.0
	s_wait_alu 0xfffe
	v_cndmask_b32_e64 v62, 0, 1.0, s0
	v_cndmask_b32_e64 v61, v61, 1.0, vcc_lo
	s_delay_alu instid0(VALU_DEP_2) | instskip(NEXT) | instid1(VALU_DEP_1)
	v_mul_f32_e32 v62, s30, v62
	v_fmac_f32_e32 v139, v61, v62
	s_cbranch_scc1 .LBB6_28
; %bb.29:                               ;   in Loop: Header=BB6_27 Depth=1
	s_add_co_i32 s12, s12, 1
	s_clause 0xb
	scratch_store_b128 off, v[128:131], off
	scratch_store_b128 off, v[124:127], off offset:16
	scratch_store_b128 off, v[120:123], off offset:32
	;; [unrolled: 1-line block ×11, first 2 shown]
	s_wait_alu 0xfffe
	s_cmp_lg_u32 s12, s3
	s_clause 0x3
	scratch_store_b128 off, v[148:151], off offset:192
	scratch_store_b128 off, v[144:147], off offset:208
	;; [unrolled: 1-line block ×4, first 2 shown]
	s_cbranch_scc1 .LBB6_27
; %bb.30:
	s_and_saveexec_b32 s0, s2
	s_cbranch_execz .LBB6_32
; %bb.31:
	s_clause 0xb
	scratch_load_b128 v[0:3], off, off offset:84
	scratch_load_b128 v[4:7], off, off offset:100
	;; [unrolled: 1-line block ×5, first 2 shown]
	scratch_load_b64 v[81:82], off, off offset:4836 th:TH_LOAD_LU
	scratch_load_b128 v[20:23], off, off offset:164
	scratch_load_b128 v[24:27], off, off offset:180
	;; [unrolled: 1-line block ×5, first 2 shown]
	scratch_load_b96 v[40:42], off, off offset:244
	s_wait_loadcnt 0x6
	v_dual_mul_f32 v51, 0.5, v128 :: v_dual_mov_b32 v82, 0
	v_dual_mul_f32 v52, 0.5, v129 :: v_dual_mul_f32 v53, 0.5, v130
	v_dual_mul_f32 v54, 0.5, v131 :: v_dual_mul_f32 v55, 0.5, v124
	;; [unrolled: 1-line block ×10, first 2 shown]
	v_mul_f32_e32 v1, 0.5, v1
	v_mul_f32_e32 v3, 0.5, v3
	;; [unrolled: 1-line block ×3, first 2 shown]
	v_dual_mul_f32 v7, 0.5, v7 :: v_dual_mul_f32 v0, 0.5, v0
	v_lshlrev_b64_e32 v[43:44], 2, v[81:82]
	v_add_nc_u32_e32 v81, s24, v81
	v_mul_f32_e32 v9, 0.5, v9
	v_dual_mul_f32 v11, 0.5, v11 :: v_dual_mul_f32 v2, 0.5, v2
	v_mul_f32_e32 v13, 0.5, v13
	s_delay_alu instid0(VALU_DEP_4) | instskip(SKIP_4) | instid1(VALU_DEP_3)
	v_lshlrev_b64_e32 v[45:46], 2, v[81:82]
	v_add_nc_u32_e32 v81, s24, v81
	v_add_co_u32 v43, vcc_lo, s4, v43
	s_wait_alu 0xfffd
	v_add_co_ci_u32_e64 v44, null, s5, v44, vcc_lo
	v_lshlrev_b64_e32 v[47:48], 2, v[81:82]
	v_dual_mul_f32 v4, 0.5, v4 :: v_dual_add_nc_u32 v81, s24, v81
	v_add_co_u32 v45, vcc_lo, s4, v45
	s_wait_alu 0xfffd
	v_add_co_ci_u32_e64 v46, null, s5, v46, vcc_lo
	s_delay_alu instid0(VALU_DEP_3)
	v_lshlrev_b64_e32 v[49:50], 2, v[81:82]
	v_dual_mul_f32 v6, 0.5, v6 :: v_dual_add_nc_u32 v81, s24, v81
	v_add_co_u32 v47, vcc_lo, s4, v47
	s_wait_alu 0xfffd
	v_add_co_ci_u32_e64 v48, null, s5, v48, vcc_lo
	s_clause 0x1
	global_store_b32 v[43:44], v51, off
	global_store_b32 v[45:46], v52, off
	v_lshlrev_b64_e32 v[43:44], 2, v[81:82]
	v_dual_mul_f32 v8, 0.5, v8 :: v_dual_add_nc_u32 v81, s24, v81
	global_store_b32 v[47:48], v53, off
	v_add_co_u32 v45, vcc_lo, s4, v49
	v_lshlrev_b64_e32 v[47:48], 2, v[81:82]
	v_dual_mul_f32 v10, 0.5, v10 :: v_dual_add_nc_u32 v81, s24, v81
	s_wait_alu 0xfffd
	v_add_co_ci_u32_e64 v46, null, s5, v50, vcc_lo
	v_add_co_u32 v43, vcc_lo, s4, v43
	s_delay_alu instid0(VALU_DEP_3)
	v_lshlrev_b64_e32 v[49:50], 2, v[81:82]
	v_dual_mul_f32 v12, 0.5, v12 :: v_dual_add_nc_u32 v81, s24, v81
	s_wait_alu 0xfffd
	v_add_co_ci_u32_e64 v44, null, s5, v44, vcc_lo
	v_add_co_u32 v47, vcc_lo, s4, v47
	s_wait_alu 0xfffd
	v_add_co_ci_u32_e64 v48, null, s5, v48, vcc_lo
	s_clause 0x1
	global_store_b32 v[45:46], v54, off
	global_store_b32 v[43:44], v55, off
	v_lshlrev_b64_e32 v[43:44], 2, v[81:82]
	v_dual_mul_f32 v14, 0.5, v14 :: v_dual_add_nc_u32 v81, s24, v81
	global_store_b32 v[47:48], v56, off
	v_add_co_u32 v45, vcc_lo, s4, v49
	v_lshlrev_b64_e32 v[47:48], 2, v[81:82]
	v_dual_mul_f32 v16, 0.5, v16 :: v_dual_add_nc_u32 v81, s24, v81
	s_wait_alu 0xfffd
	v_add_co_ci_u32_e64 v46, null, s5, v50, vcc_lo
	v_add_co_u32 v43, vcc_lo, s4, v43
	s_delay_alu instid0(VALU_DEP_3)
	v_lshlrev_b64_e32 v[49:50], 2, v[81:82]
	v_dual_mul_f32 v18, 0.5, v18 :: v_dual_add_nc_u32 v81, s24, v81
	s_wait_alu 0xfffd
	v_add_co_ci_u32_e64 v44, null, s5, v44, vcc_lo
	v_add_co_u32 v47, vcc_lo, s4, v47
	s_wait_alu 0xfffd
	v_add_co_ci_u32_e64 v48, null, s5, v48, vcc_lo
	s_clause 0x1
	global_store_b32 v[45:46], v57, off
	global_store_b32 v[43:44], v58, off
	v_lshlrev_b64_e32 v[43:44], 2, v[81:82]
	v_add_nc_u32_e32 v81, s24, v81
	global_store_b32 v[47:48], v59, off
	v_add_co_u32 v45, vcc_lo, s4, v49
	s_wait_alu 0xfffd
	v_add_co_ci_u32_e64 v46, null, s5, v50, vcc_lo
	v_lshlrev_b64_e32 v[47:48], 2, v[81:82]
	v_add_nc_u32_e32 v81, s24, v81
	v_add_co_u32 v43, vcc_lo, s4, v43
	s_wait_alu 0xfffd
	v_add_co_ci_u32_e64 v44, null, s5, v44, vcc_lo
	s_delay_alu instid0(VALU_DEP_3)
	v_lshlrev_b64_e32 v[49:50], 2, v[81:82]
	v_add_nc_u32_e32 v81, s24, v81
	v_add_co_u32 v47, vcc_lo, s4, v47
	s_wait_alu 0xfffd
	v_add_co_ci_u32_e64 v48, null, s5, v48, vcc_lo
	s_clause 0x1
	global_store_b32 v[45:46], v60, off
	global_store_b32 v[43:44], v61, off
	v_lshlrev_b64_e32 v[43:44], 2, v[81:82]
	v_add_nc_u32_e32 v81, s24, v81
	global_store_b32 v[47:48], v62, off
	v_add_co_u32 v45, vcc_lo, s4, v49
	s_wait_alu 0xfffd
	v_add_co_ci_u32_e64 v46, null, s5, v50, vcc_lo
	v_lshlrev_b64_e32 v[47:48], 2, v[81:82]
	v_add_nc_u32_e32 v81, s24, v81
	v_add_co_u32 v43, vcc_lo, s4, v43
	s_wait_alu 0xfffd
	v_add_co_ci_u32_e64 v44, null, s5, v44, vcc_lo
	s_delay_alu instid0(VALU_DEP_3)
	v_lshlrev_b64_e32 v[49:50], 2, v[81:82]
	v_add_nc_u32_e32 v81, s24, v81
	;; [unrolled: 20-line block ×4, first 2 shown]
	v_add_co_u32 v47, vcc_lo, s4, v47
	s_wait_alu 0xfffd
	v_add_co_ci_u32_e64 v48, null, s5, v48, vcc_lo
	s_clause 0x1
	global_store_b32 v[45:46], v69, off
	global_store_b32 v[43:44], v70, off
	v_lshlrev_b64_e32 v[43:44], 2, v[81:82]
	v_add_nc_u32_e32 v81, s24, v81
	global_store_b32 v[47:48], v71, off
	v_add_co_u32 v45, vcc_lo, s4, v49
	s_wait_alu 0xfffd
	v_add_co_ci_u32_e64 v46, null, s5, v50, vcc_lo
	v_lshlrev_b64_e32 v[47:48], 2, v[81:82]
	v_add_nc_u32_e32 v81, s24, v81
	v_add_co_u32 v43, vcc_lo, s4, v43
	s_wait_alu 0xfffd
	v_add_co_ci_u32_e64 v44, null, s5, v44, vcc_lo
	s_delay_alu instid0(VALU_DEP_3) | instskip(SKIP_4) | instid1(VALU_DEP_3)
	v_lshlrev_b64_e32 v[49:50], 2, v[81:82]
	v_add_nc_u32_e32 v81, s24, v81
	v_add_co_u32 v47, vcc_lo, s4, v47
	s_wait_alu 0xfffd
	v_add_co_ci_u32_e64 v48, null, s5, v48, vcc_lo
	v_lshlrev_b64_e32 v[51:52], 2, v[81:82]
	v_add_nc_u32_e32 v81, s24, v81
	v_add_co_u32 v49, vcc_lo, s4, v49
	s_wait_alu 0xfffd
	v_add_co_ci_u32_e64 v50, null, s5, v50, vcc_lo
	s_delay_alu instid0(VALU_DEP_3) | instskip(SKIP_4) | instid1(VALU_DEP_3)
	v_lshlrev_b64_e32 v[53:54], 2, v[81:82]
	v_add_nc_u32_e32 v81, s24, v81
	;; [unrolled: 11-line block ×8, first 2 shown]
	v_add_co_u32 v75, vcc_lo, s4, v75
	s_wait_alu 0xfffd
	v_add_co_ci_u32_e64 v76, null, s5, v76, vcc_lo
	v_lshlrev_b64_e32 v[79:80], 2, v[81:82]
	v_add_nc_u32_e32 v81, s24, v81
	v_mul_f32_e32 v15, 0.5, v15
	s_clause 0x10
	global_store_b32 v[45:46], v0, off
	global_store_b32 v[43:44], v1, off
	;; [unrolled: 1-line block ×17, first 2 shown]
	v_add_co_u32 v77, vcc_lo, s4, v77
	v_lshlrev_b64_e32 v[0:1], 2, v[81:82]
	v_add_nc_u32_e32 v81, s24, v81
	s_wait_alu 0xfffd
	v_add_co_ci_u32_e64 v78, null, s5, v78, vcc_lo
	v_add_co_u32 v2, vcc_lo, s4, v79
	v_mul_f32_e32 v17, 0.5, v17
	s_wait_alu 0xfffd
	v_add_co_ci_u32_e64 v3, null, s5, v80, vcc_lo
	v_add_co_u32 v0, vcc_lo, s4, v0
	v_lshlrev_b64_e32 v[4:5], 2, v[81:82]
	v_dual_mul_f32 v6, 0.5, v19 :: v_dual_add_nc_u32 v81, s24, v81
	s_wait_alu 0xfffd
	v_add_co_ci_u32_e64 v1, null, s5, v1, vcc_lo
	s_clause 0x2
	global_store_b32 v[77:78], v17, off
	global_store_b32 v[2:3], v18, off
	;; [unrolled: 1-line block ×3, first 2 shown]
	v_lshlrev_b64_e32 v[0:1], 2, v[81:82]
	v_add_nc_u32_e32 v81, s24, v81
	v_add_co_u32 v2, vcc_lo, s4, v4
	s_wait_alu 0xfffd
	v_add_co_ci_u32_e64 v3, null, s5, v5, vcc_lo
	s_delay_alu instid0(VALU_DEP_3)
	v_lshlrev_b64_e32 v[4:5], 2, v[81:82]
	v_add_nc_u32_e32 v81, s24, v81
	v_add_co_u32 v0, vcc_lo, s4, v0
	s_wait_loadcnt 0x5
	v_mul_f32_e32 v8, 0.5, v20
	s_wait_alu 0xfffd
	v_add_co_ci_u32_e64 v1, null, s5, v1, vcc_lo
	v_add_co_u32 v4, vcc_lo, s4, v4
	v_lshlrev_b64_e32 v[6:7], 2, v[81:82]
	v_add_nc_u32_e32 v81, s24, v81
	v_dual_mul_f32 v9, 0.5, v21 :: v_dual_mul_f32 v10, 0.5, v22
	s_wait_alu 0xfffd
	v_add_co_ci_u32_e64 v5, null, s5, v5, vcc_lo
	s_clause 0x2
	global_store_b32 v[2:3], v8, off
	global_store_b32 v[0:1], v9, off
	;; [unrolled: 1-line block ×3, first 2 shown]
	v_lshlrev_b64_e32 v[0:1], 2, v[81:82]
	v_add_nc_u32_e32 v81, s24, v81
	v_add_co_u32 v2, vcc_lo, s4, v6
	s_wait_alu 0xfffd
	v_add_co_ci_u32_e64 v3, null, s5, v7, vcc_lo
	s_delay_alu instid0(VALU_DEP_3)
	v_lshlrev_b64_e32 v[4:5], 2, v[81:82]
	v_add_nc_u32_e32 v81, s24, v81
	v_add_co_u32 v0, vcc_lo, s4, v0
	v_mul_f32_e32 v8, 0.5, v23
	s_wait_alu 0xfffd
	v_add_co_ci_u32_e64 v1, null, s5, v1, vcc_lo
	v_add_co_u32 v4, vcc_lo, s4, v4
	v_lshlrev_b64_e32 v[6:7], 2, v[81:82]
	v_add_nc_u32_e32 v81, s24, v81
	s_wait_loadcnt 0x4
	v_dual_mul_f32 v9, 0.5, v24 :: v_dual_mul_f32 v10, 0.5, v25
	s_wait_alu 0xfffd
	v_add_co_ci_u32_e64 v5, null, s5, v5, vcc_lo
	s_clause 0x2
	global_store_b32 v[2:3], v8, off
	global_store_b32 v[0:1], v9, off
	;; [unrolled: 1-line block ×3, first 2 shown]
	v_lshlrev_b64_e32 v[0:1], 2, v[81:82]
	v_add_nc_u32_e32 v81, s24, v81
	v_add_co_u32 v2, vcc_lo, s4, v6
	s_wait_alu 0xfffd
	v_add_co_ci_u32_e64 v3, null, s5, v7, vcc_lo
	s_delay_alu instid0(VALU_DEP_3)
	v_lshlrev_b64_e32 v[4:5], 2, v[81:82]
	v_add_nc_u32_e32 v81, s24, v81
	v_add_co_u32 v0, vcc_lo, s4, v0
	v_mul_f32_e32 v8, 0.5, v26
	s_wait_alu 0xfffd
	v_add_co_ci_u32_e64 v1, null, s5, v1, vcc_lo
	v_add_co_u32 v4, vcc_lo, s4, v4
	v_lshlrev_b64_e32 v[6:7], 2, v[81:82]
	v_add_nc_u32_e32 v81, s24, v81
	s_wait_loadcnt 0x3
	v_dual_mul_f32 v9, 0.5, v27 :: v_dual_mul_f32 v10, 0.5, v28
	s_wait_alu 0xfffd
	v_add_co_ci_u32_e64 v5, null, s5, v5, vcc_lo
	s_clause 0x2
	global_store_b32 v[2:3], v8, off
	global_store_b32 v[0:1], v9, off
	;; [unrolled: 1-line block ×3, first 2 shown]
	v_lshlrev_b64_e32 v[0:1], 2, v[81:82]
	v_add_nc_u32_e32 v81, s24, v81
	v_add_co_u32 v2, vcc_lo, s4, v6
	s_wait_alu 0xfffd
	v_add_co_ci_u32_e64 v3, null, s5, v7, vcc_lo
	s_delay_alu instid0(VALU_DEP_3)
	v_lshlrev_b64_e32 v[4:5], 2, v[81:82]
	v_add_nc_u32_e32 v81, s24, v81
	v_add_co_u32 v0, vcc_lo, s4, v0
	v_mul_f32_e32 v8, 0.5, v29
	s_wait_alu 0xfffd
	v_add_co_ci_u32_e64 v1, null, s5, v1, vcc_lo
	v_add_co_u32 v4, vcc_lo, s4, v4
	v_lshlrev_b64_e32 v[6:7], 2, v[81:82]
	v_add_nc_u32_e32 v81, s24, v81
	v_dual_mul_f32 v9, 0.5, v30 :: v_dual_mul_f32 v10, 0.5, v31
	s_wait_alu 0xfffd
	v_add_co_ci_u32_e64 v5, null, s5, v5, vcc_lo
	s_clause 0x2
	global_store_b32 v[2:3], v8, off
	global_store_b32 v[0:1], v9, off
	;; [unrolled: 1-line block ×3, first 2 shown]
	v_lshlrev_b64_e32 v[0:1], 2, v[81:82]
	v_add_nc_u32_e32 v81, s24, v81
	v_add_co_u32 v2, vcc_lo, s4, v6
	s_wait_alu 0xfffd
	v_add_co_ci_u32_e64 v3, null, s5, v7, vcc_lo
	s_delay_alu instid0(VALU_DEP_3)
	v_lshlrev_b64_e32 v[4:5], 2, v[81:82]
	v_add_nc_u32_e32 v81, s24, v81
	v_add_co_u32 v0, vcc_lo, s4, v0
	s_wait_loadcnt 0x2
	v_mul_f32_e32 v8, 0.5, v32
	s_wait_alu 0xfffd
	v_add_co_ci_u32_e64 v1, null, s5, v1, vcc_lo
	v_add_co_u32 v4, vcc_lo, s4, v4
	v_lshlrev_b64_e32 v[6:7], 2, v[81:82]
	v_add_nc_u32_e32 v81, s24, v81
	v_dual_mul_f32 v9, 0.5, v33 :: v_dual_mul_f32 v10, 0.5, v34
	s_wait_alu 0xfffd
	v_add_co_ci_u32_e64 v5, null, s5, v5, vcc_lo
	s_clause 0x2
	global_store_b32 v[2:3], v8, off
	global_store_b32 v[0:1], v9, off
	;; [unrolled: 1-line block ×3, first 2 shown]
	v_lshlrev_b64_e32 v[0:1], 2, v[81:82]
	v_add_nc_u32_e32 v81, s24, v81
	v_add_co_u32 v2, vcc_lo, s4, v6
	s_wait_alu 0xfffd
	v_add_co_ci_u32_e64 v3, null, s5, v7, vcc_lo
	s_delay_alu instid0(VALU_DEP_3)
	v_lshlrev_b64_e32 v[4:5], 2, v[81:82]
	v_add_nc_u32_e32 v81, s24, v81
	v_add_co_u32 v0, vcc_lo, s4, v0
	v_mul_f32_e32 v8, 0.5, v35
	s_wait_alu 0xfffd
	v_add_co_ci_u32_e64 v1, null, s5, v1, vcc_lo
	v_add_co_u32 v4, vcc_lo, s4, v4
	v_lshlrev_b64_e32 v[6:7], 2, v[81:82]
	v_add_nc_u32_e32 v81, s24, v81
	s_wait_loadcnt 0x1
	v_dual_mul_f32 v9, 0.5, v36 :: v_dual_mul_f32 v10, 0.5, v37
	s_wait_alu 0xfffd
	v_add_co_ci_u32_e64 v5, null, s5, v5, vcc_lo
	s_clause 0x2
	global_store_b32 v[2:3], v8, off
	global_store_b32 v[0:1], v9, off
	global_store_b32 v[4:5], v10, off
	v_lshlrev_b64_e32 v[0:1], 2, v[81:82]
	v_add_nc_u32_e32 v81, s24, v81
	v_add_co_u32 v2, vcc_lo, s4, v6
	s_wait_alu 0xfffd
	v_add_co_ci_u32_e64 v3, null, s5, v7, vcc_lo
	s_delay_alu instid0(VALU_DEP_3) | instskip(SKIP_4) | instid1(VALU_DEP_3)
	v_lshlrev_b64_e32 v[4:5], 2, v[81:82]
	v_add_nc_u32_e32 v81, s24, v81
	v_add_co_u32 v0, vcc_lo, s4, v0
	s_wait_alu 0xfffd
	v_add_co_ci_u32_e64 v1, null, s5, v1, vcc_lo
	v_lshlrev_b64_e32 v[6:7], 2, v[81:82]
	v_add_nc_u32_e32 v81, s24, v81
	v_add_co_u32 v4, vcc_lo, s4, v4
	v_mul_f32_e32 v10, 0.5, v38
	s_wait_alu 0xfffd
	v_add_co_ci_u32_e64 v5, null, s5, v5, vcc_lo
	v_lshlrev_b64_e32 v[8:9], 2, v[81:82]
	v_add_co_u32 v6, vcc_lo, s4, v6
	s_wait_loadcnt 0x0
	v_dual_mul_f32 v11, 0.5, v39 :: v_dual_mul_f32 v12, 0.5, v40
	s_wait_alu 0xfffd
	v_add_co_ci_u32_e64 v7, null, s5, v7, vcc_lo
	v_add_co_u32 v8, vcc_lo, s4, v8
	v_dual_mul_f32 v13, 0.5, v41 :: v_dual_mul_f32 v14, 0.5, v42
	s_wait_alu 0xfffd
	v_add_co_ci_u32_e64 v9, null, s5, v9, vcc_lo
	s_clause 0x4
	global_store_b32 v[2:3], v10, off
	global_store_b32 v[0:1], v11, off
	global_store_b32 v[4:5], v12, off
	global_store_b32 v[6:7], v13, off
	global_store_b32 v[8:9], v14, off
.LBB6_32:
	s_nop 0
	s_sendmsg sendmsg(MSG_DEALLOC_VGPRS)
	s_endpgm
	.section	.rodata,"a",@progbits
	.p2align	6, 0x0
	.amdhsa_kernel _ZL11fasten_mainILm64EEviiPK4AtomS2_PKfS4_S4_S4_S4_S4_PfPK8FFParamsi
		.amdhsa_group_segment_fixed_size 0
		.amdhsa_private_segment_fixed_size 4848
		.amdhsa_kernarg_size 352
		.amdhsa_user_sgpr_count 2
		.amdhsa_user_sgpr_dispatch_ptr 0
		.amdhsa_user_sgpr_queue_ptr 0
		.amdhsa_user_sgpr_kernarg_segment_ptr 1
		.amdhsa_user_sgpr_dispatch_id 0
		.amdhsa_user_sgpr_private_segment_size 0
		.amdhsa_wavefront_size32 1
		.amdhsa_uses_dynamic_stack 0
		.amdhsa_enable_private_segment 1
		.amdhsa_system_sgpr_workgroup_id_x 1
		.amdhsa_system_sgpr_workgroup_id_y 0
		.amdhsa_system_sgpr_workgroup_id_z 0
		.amdhsa_system_sgpr_workgroup_info 0
		.amdhsa_system_vgpr_workitem_id 0
		.amdhsa_next_free_vgpr 192
		.amdhsa_next_free_sgpr 35
		.amdhsa_reserve_vcc 1
		.amdhsa_float_round_mode_32 0
		.amdhsa_float_round_mode_16_64 0
		.amdhsa_float_denorm_mode_32 3
		.amdhsa_float_denorm_mode_16_64 3
		.amdhsa_fp16_overflow 0
		.amdhsa_workgroup_processor_mode 1
		.amdhsa_memory_ordered 1
		.amdhsa_forward_progress 1
		.amdhsa_inst_pref_size 255
		.amdhsa_round_robin_scheduling 0
		.amdhsa_exception_fp_ieee_invalid_op 0
		.amdhsa_exception_fp_denorm_src 0
		.amdhsa_exception_fp_ieee_div_zero 0
		.amdhsa_exception_fp_ieee_overflow 0
		.amdhsa_exception_fp_ieee_underflow 0
		.amdhsa_exception_fp_ieee_inexact 0
		.amdhsa_exception_int_div_zero 0
	.end_amdhsa_kernel
	.section	.text._ZL11fasten_mainILm64EEviiPK4AtomS2_PKfS4_S4_S4_S4_S4_PfPK8FFParamsi,"axG",@progbits,_ZL11fasten_mainILm64EEviiPK4AtomS2_PKfS4_S4_S4_S4_S4_PfPK8FFParamsi,comdat
.Lfunc_end6:
	.size	_ZL11fasten_mainILm64EEviiPK4AtomS2_PKfS4_S4_S4_S4_S4_PfPK8FFParamsi, .Lfunc_end6-_ZL11fasten_mainILm64EEviiPK4AtomS2_PKfS4_S4_S4_S4_S4_PfPK8FFParamsi
                                        ; -- End function
	.set _ZL11fasten_mainILm64EEviiPK4AtomS2_PKfS4_S4_S4_S4_S4_PfPK8FFParamsi.num_vgpr, 192
	.set _ZL11fasten_mainILm64EEviiPK4AtomS2_PKfS4_S4_S4_S4_S4_PfPK8FFParamsi.num_agpr, 0
	.set _ZL11fasten_mainILm64EEviiPK4AtomS2_PKfS4_S4_S4_S4_S4_PfPK8FFParamsi.numbered_sgpr, 35
	.set _ZL11fasten_mainILm64EEviiPK4AtomS2_PKfS4_S4_S4_S4_S4_PfPK8FFParamsi.num_named_barrier, 0
	.set _ZL11fasten_mainILm64EEviiPK4AtomS2_PKfS4_S4_S4_S4_S4_PfPK8FFParamsi.private_seg_size, 4848
	.set _ZL11fasten_mainILm64EEviiPK4AtomS2_PKfS4_S4_S4_S4_S4_PfPK8FFParamsi.uses_vcc, 1
	.set _ZL11fasten_mainILm64EEviiPK4AtomS2_PKfS4_S4_S4_S4_S4_PfPK8FFParamsi.uses_flat_scratch, 1
	.set _ZL11fasten_mainILm64EEviiPK4AtomS2_PKfS4_S4_S4_S4_S4_PfPK8FFParamsi.has_dyn_sized_stack, 0
	.set _ZL11fasten_mainILm64EEviiPK4AtomS2_PKfS4_S4_S4_S4_S4_PfPK8FFParamsi.has_recursion, 0
	.set _ZL11fasten_mainILm64EEviiPK4AtomS2_PKfS4_S4_S4_S4_S4_PfPK8FFParamsi.has_indirect_call, 0
	.section	.AMDGPU.csdata,"",@progbits
; Kernel info:
; codeLenInByte = 43512
; TotalNumSgprs: 37
; NumVgprs: 192
; ScratchSize: 4848
; MemoryBound: 0
; FloatMode: 240
; IeeeMode: 1
; LDSByteSize: 0 bytes/workgroup (compile time only)
; SGPRBlocks: 0
; VGPRBlocks: 23
; NumSGPRsForWavesPerEU: 37
; NumVGPRsForWavesPerEU: 192
; Occupancy: 8
; WaveLimiterHint : 1
; COMPUTE_PGM_RSRC2:SCRATCH_EN: 1
; COMPUTE_PGM_RSRC2:USER_SGPR: 2
; COMPUTE_PGM_RSRC2:TRAP_HANDLER: 0
; COMPUTE_PGM_RSRC2:TGID_X_EN: 1
; COMPUTE_PGM_RSRC2:TGID_Y_EN: 0
; COMPUTE_PGM_RSRC2:TGID_Z_EN: 0
; COMPUTE_PGM_RSRC2:TIDIG_COMP_CNT: 0
	.section	.text._ZL11fasten_mainILm128EEviiPK4AtomS2_PKfS4_S4_S4_S4_S4_PfPK8FFParamsi,"axG",@progbits,_ZL11fasten_mainILm128EEviiPK4AtomS2_PKfS4_S4_S4_S4_S4_PfPK8FFParamsi,comdat
	.globl	_ZL11fasten_mainILm128EEviiPK4AtomS2_PKfS4_S4_S4_S4_S4_PfPK8FFParamsi ; -- Begin function _ZL11fasten_mainILm128EEviiPK4AtomS2_PKfS4_S4_S4_S4_S4_PfPK8FFParamsi
	.p2align	8
	.type	_ZL11fasten_mainILm128EEviiPK4AtomS2_PKfS4_S4_S4_S4_S4_PfPK8FFParamsi,@function
_ZL11fasten_mainILm128EEviiPK4AtomS2_PKfS4_S4_S4_S4_S4_PfPK8FFParamsi: ; @_ZL11fasten_mainILm128EEviiPK4AtomS2_PKfS4_S4_S4_S4_S4_PfPK8FFParamsi
; %bb.0:
	s_clause 0x2
	s_load_b32 s2, s[0:1], 0x6c
	s_load_b32 s3, s[0:1], 0x58
	s_load_b512 s[8:23], s[0:1], 0x8
	v_mov_b32_e32 v3, 0
	s_mov_b32 s5, 0
	s_mov_b32 s7, 0
	;; [unrolled: 1-line block ×5, first 2 shown]
	s_wait_kmcnt 0x0
	s_and_b32 s24, s2, 0xffff
	s_add_co_i32 s4, s3, 0xffffff80
	s_mul_i32 s2, ttmp9, s24
	s_lshl_b32 s6, s24, 2
	v_lshl_add_u32 v46, s2, 7, v0
	s_delay_alu instid0(VALU_DEP_1) | instskip(SKIP_1) | instid1(VALU_DEP_1)
	v_cmp_gt_i32_e64 s2, s3, v46
	s_wait_alu 0xf1ff
	v_cndmask_b32_e64 v0, s4, v46, s2
	s_delay_alu instid0(VALU_DEP_1) | instskip(NEXT) | instid1(VALU_DEP_1)
	v_ashrrev_i32_e32 v1, 31, v0
	v_lshlrev_b64_e32 v[0:1], 2, v[0:1]
	s_branch .LBB7_2
.LBB7_1:                                ;   in Loop: Header=BB7_2 Depth=1
	s_wait_alu 0xfffe
	s_or_b32 exec_lo, exec_lo, s3
	v_add_co_u32 v20, vcc_lo, s18, v0
	s_wait_alu 0xfffd
	v_add_co_ci_u32_e64 v21, null, s19, v1, vcc_lo
	v_add_co_u32 v23, vcc_lo, s20, v0
	s_wait_alu 0xfffd
	v_add_co_ci_u32_e64 v24, null, s21, v1, vcc_lo
	;; [unrolled: 3-line block ×3, first 2 shown]
	global_load_b32 v20, v[20:21], off
	global_load_b32 v24, v[23:24], off
	;; [unrolled: 1-line block ×3, first 2 shown]
	v_mul_f32_e32 v27, v12, v12
	v_dual_mul_f32 v21, v18, v18 :: v_dual_and_b32 v26, 1, v16
	v_dual_mul_f32 v30, v8, v8 :: v_dual_and_b32 v23, 1, v19
	v_dual_mul_f32 v25, v14, v14 :: v_dual_lshlrev_b32 v16, 30, v16
	v_dual_mul_f32 v34, v2, v2 :: v_dual_and_b32 v29, 1, v13
	s_delay_alu instid0(VALU_DEP_4) | instskip(SKIP_4) | instid1(VALU_DEP_3)
	v_dual_fmaak_f32 v36, s26, v21, 0x3c0881c4 :: v_dual_and_b32 v31, 1, v10
	v_lshlrev_b32_e32 v10, 30, v10
	v_dual_fmaak_f32 v40, s26, v27, 0x3c0881c4 :: v_dual_lshlrev_b32 v13, 30, v13
	v_dual_fmaak_f32 v38, s26, v25, 0x3c0881c4 :: v_dual_and_b32 v33, 1, v7
	v_dual_fmaak_f32 v42, s26, v30, 0x3c0881c4 :: v_dual_lshlrev_b32 v7, 30, v7
	v_dual_fmaak_f32 v40, v27, v40, 0xbe2aaa9d :: v_dual_lshlrev_b32 v19, 30, v19
	v_mul_f32_e32 v32, v6, v6
	v_and_b32_e32 v35, 1, v22
	v_dual_fmaak_f32 v37, s27, v21, 0xbab64f3b :: v_dual_lshlrev_b32 v22, 30, v22
	s_delay_alu instid0(VALU_DEP_4)
	v_dual_mul_f32 v40, v27, v40 :: v_dual_and_b32 v13, 0x80000000, v13
	v_fmaak_f32 v47, s26, v34, 0x3c0881c4
	v_fmaak_f32 v38, v25, v38, 0xbe2aaa9d
	;; [unrolled: 1-line block ×4, first 2 shown]
	v_dual_fmaak_f32 v39, s27, v25, 0xbab64f3b :: v_dual_fmaak_f32 v48, s27, v34, 0xbab64f3b
	v_fmaak_f32 v44, s26, v32, 0x3c0881c4
	s_delay_alu instid0(VALU_DEP_3) | instskip(NEXT) | instid1(VALU_DEP_3)
	v_dual_fmaak_f32 v45, s27, v32, 0xbab64f3b :: v_dual_mul_f32 v42, v30, v42
	v_dual_fmaak_f32 v37, v21, v37, 0x3d2aabf7 :: v_dual_fmaak_f32 v48, v34, v48, 0x3d2aabf7
	v_dual_mul_f32 v38, v25, v38 :: v_dual_fmaak_f32 v41, v27, v41, 0x3d2aabf7
	s_delay_alu instid0(VALU_DEP_3)
	v_fmac_f32_e32 v8, v8, v42
	v_fmac_f32_e32 v12, v12, v40
	v_dual_fmaak_f32 v36, v21, v36, 0xbe2aaa9d :: v_dual_fmaak_f32 v47, v34, v47, 0xbe2aaa9d
	v_and_b32_e32 v19, 0x80000000, v19
	v_and_b32_e32 v16, 0x80000000, v16
	v_dual_fmaak_f32 v39, v25, v39, 0x3d2aabf7 :: v_dual_fmac_f32 v14, v14, v38
	v_fmaak_f32 v44, v32, v44, 0xbe2aaa9d
	v_mul_f32_e32 v36, v21, v36
	v_dual_fmaak_f32 v37, v21, v37, 0xbf000004 :: v_dual_fmaak_f32 v48, v34, v48, 0xbf000004
	v_mul_f32_e32 v47, v34, v47
	v_fmaak_f32 v41, v27, v41, 0xbf000004
	v_dual_fmaak_f32 v43, s27, v30, 0xbab64f3b :: v_dual_mul_f32 v44, v32, v44
	v_dual_fmac_f32 v18, v18, v36 :: v_dual_and_b32 v7, 0x80000000, v7
	v_fmaak_f32 v45, v32, v45, 0x3d2aabf7
	v_fma_f32 v21, v21, v37, 1.0
	v_fmac_f32_e32 v2, v2, v47
	v_fma_f32 v27, v27, v41, 1.0
	v_fmaak_f32 v39, v25, v39, 0xbf000004
	v_cmp_eq_u32_e32 vcc_lo, 0, v23
	v_fmaak_f32 v43, v30, v43, 0x3d2aabf7
	v_dual_fmac_f32 v6, v6, v44 :: v_dual_fmaak_f32 v45, v32, v45, 0xbf000004
	s_delay_alu instid0(VALU_DEP_4)
	v_fma_f32 v25, v25, v39, 1.0
	s_wait_alu 0xfffd
	v_cndmask_b32_e32 v18, v21, v18, vcc_lo
	v_cmp_eq_u32_e32 vcc_lo, 0, v26
	v_xor_b32_e32 v11, v11, v9
	v_fma_f32 v32, v32, v45, 1.0
	v_fmaak_f32 v43, v30, v43, 0xbf000004
	v_xor_b32_e32 v5, v5, v4
	s_wait_alu 0xfffd
	v_cndmask_b32_e64 v14, -v14, v25, vcc_lo
	v_cmp_eq_u32_e32 vcc_lo, 0, v29
	v_fma_f32 v34, v34, v48, 1.0
	v_fma_f32 v30, v30, v43, 1.0
	v_cmp_class_f32_e64 s3, v4, 0x1f8
	v_xor_b32_e32 v17, v17, v15
	s_wait_alu 0xfffd
	v_cndmask_b32_e32 v12, v27, v12, vcc_lo
	v_cmp_eq_u32_e32 vcc_lo, 0, v31
	v_cmp_class_f32_e64 s4, v15, 0x1f8
	v_xor_b32_e32 v14, v16, v14
	v_xor3_b32 v17, v17, v19, v18
	s_add_co_i32 s28, s5, 0x200
	s_wait_alu 0xfffd
	v_cndmask_b32_e64 v8, -v8, v30, vcc_lo
	v_cmp_eq_u32_e32 vcc_lo, 0, v33
	s_add_co_i32 s5, s5, 48
	scratch_store_b32 off, v3, s7
	s_add_co_i32 s7, s7, 4
	s_wait_alu 0xfffe
	s_cmp_lg_u32 s5, 0x1800
	s_wait_alu 0xfffd
	v_cndmask_b32_e32 v6, v32, v6, vcc_lo
	v_cmp_eq_u32_e32 vcc_lo, 0, v35
	s_delay_alu instid0(VALU_DEP_2)
	v_xor3_b32 v4, v5, v7, v6
	s_wait_alu 0xfffd
	v_cndmask_b32_e64 v2, -v2, v34, vcc_lo
	v_cmp_class_f32_e64 vcc_lo, v9, 0x1f8
	v_xor3_b32 v9, v11, v13, v12
	v_cndmask_b32_e64 v5, 0x7fc00000, v17, s4
	v_cndmask_b32_e64 v4, 0x7fc00000, v4, s3
	s_wait_alu 0xfffd
	v_cndmask_b32_e32 v6, 0x7fc00000, v14, vcc_lo
	v_cndmask_b32_e32 v7, 0x7fc00000, v9, vcc_lo
	v_and_b32_e32 v10, 0x80000000, v10
	v_add_co_u32 v0, vcc_lo, v0, s6
	s_wait_alu 0xfffd
	v_add_co_ci_u32_e64 v1, null, 0, v1, vcc_lo
	v_mul_f32_e32 v9, v4, v7
	v_xor_b32_e32 v8, v10, v8
	v_dual_mul_f32 v21, v6, v5 :: v_dual_mul_f32 v26, v4, v6
	s_delay_alu instid0(VALU_DEP_2) | instskip(NEXT) | instid1(VALU_DEP_1)
	v_cndmask_b32_e64 v8, 0x7fc00000, v8, s3
	v_dual_mul_f32 v11, v8, v5 :: v_dual_and_b32 v22, 0x80000000, v22
	s_delay_alu instid0(VALU_DEP_1) | instskip(SKIP_1) | instid1(VALU_DEP_2)
	v_xor_b32_e32 v2, v22, v2
	v_mul_f32_e32 v27, v8, v6
	v_cndmask_b32_e64 v2, 0x7fc00000, v2, s4
	s_delay_alu instid0(VALU_DEP_1) | instskip(SKIP_4) | instid1(VALU_DEP_4)
	v_mul_f32_e32 v22, v8, v2
	v_mul_f32_e32 v10, v8, v7
	;; [unrolled: 1-line block ×4, first 2 shown]
	v_fma_f32 v18, v9, v2, -v11
	v_dual_fmac_f32 v22, v9, v5 :: v_dual_mul_f32 v19, v10, v2
	s_delay_alu instid0(VALU_DEP_4) | instskip(SKIP_1) | instid1(VALU_DEP_3)
	v_fma_f32 v23, v10, v5, -v12
	v_xor_b32_e32 v25, 0x80000000, v7
	v_fmac_f32_e32 v19, v4, v5
	s_wait_loadcnt 0x2
	scratch_store_b128 off, v[17:20], s28
	s_wait_loadcnt 0x1
	scratch_store_b128 off, v[21:24], s28 offset:16
	s_wait_loadcnt 0x0
	scratch_store_b128 off, v[25:28], s28 offset:32
	s_cbranch_scc0 .LBB7_26
.LBB7_2:                                ; =>This Inner Loop Header: Depth=1
	s_delay_alu instid0(VALU_DEP_1) | instskip(SKIP_1) | instid1(VALU_DEP_2)
	v_add_co_u32 v4, vcc_lo, s12, v0
	s_wait_alu 0xfffd
	v_add_co_ci_u32_e64 v5, null, s13, v1, vcc_lo
                                        ; implicit-def: $vgpr7
                                        ; implicit-def: $vgpr6
	global_load_b32 v4, v[4:5], off
	s_wait_loadcnt 0x0
	v_and_b32_e32 v5, 0x7fffffff, v4
	v_cmp_ngt_f32_e64 s28, 0x48000000, |v4|
	s_delay_alu instid0(VALU_DEP_2) | instskip(SKIP_1) | instid1(VALU_DEP_2)
	v_lshrrev_b32_e32 v2, 23, v5
	v_and_or_b32 v9, v5, s25, 0x800000
	v_add_nc_u32_e32 v11, 0xffffff88, v2
	s_and_saveexec_b32 s3, s28
	s_wait_alu 0xfffe
	s_xor_b32 s29, exec_lo, s3
	s_cbranch_execz .LBB7_4
; %bb.3:                                ;   in Loop: Header=BB7_2 Depth=1
	v_mad_co_u64_u32 v[6:7], null, 0xfe5163ab, v9, 0
	v_cmp_lt_u32_e32 vcc_lo, 63, v11
	s_delay_alu instid0(VALU_DEP_2) | instskip(NEXT) | instid1(VALU_DEP_1)
	v_mov_b32_e32 v2, v7
	v_mad_co_u64_u32 v[7:8], null, 0x3c439041, v9, v[2:3]
	s_delay_alu instid0(VALU_DEP_1) | instskip(SKIP_2) | instid1(VALU_DEP_2)
	v_mov_b32_e32 v2, v8
	s_wait_alu 0xfffd
	v_cndmask_b32_e64 v8, 0, 0xffffffc0, vcc_lo
	v_mad_co_u64_u32 v[12:13], null, 0xdb629599, v9, v[2:3]
	s_delay_alu instid0(VALU_DEP_2) | instskip(NEXT) | instid1(VALU_DEP_1)
	v_add_nc_u32_e32 v8, v8, v11
	v_cmp_lt_u32_e64 s3, 31, v8
	s_delay_alu instid0(VALU_DEP_3) | instskip(NEXT) | instid1(VALU_DEP_4)
	v_mov_b32_e32 v2, v13
	v_cndmask_b32_e32 v6, v12, v6, vcc_lo
	s_wait_alu 0xf1ff
	s_delay_alu instid0(VALU_DEP_3) | instskip(NEXT) | instid1(VALU_DEP_3)
	v_cndmask_b32_e64 v10, 0, 0xffffffe0, s3
	v_mad_co_u64_u32 v[13:14], null, 0xf534ddc0, v9, v[2:3]
	s_delay_alu instid0(VALU_DEP_2) | instskip(NEXT) | instid1(VALU_DEP_2)
	v_add_nc_u32_e32 v8, v10, v8
	v_mov_b32_e32 v2, v14
	s_delay_alu instid0(VALU_DEP_2) | instskip(NEXT) | instid1(VALU_DEP_4)
	v_cmp_lt_u32_e64 s4, 31, v8
	v_cndmask_b32_e32 v7, v13, v7, vcc_lo
	s_delay_alu instid0(VALU_DEP_3) | instskip(NEXT) | instid1(VALU_DEP_2)
	v_mad_co_u64_u32 v[14:15], null, 0xfc2757d1, v9, v[2:3]
	v_cndmask_b32_e64 v6, v7, v6, s3
	s_delay_alu instid0(VALU_DEP_2) | instskip(NEXT) | instid1(VALU_DEP_1)
	v_mov_b32_e32 v2, v15
	v_mad_co_u64_u32 v[15:16], null, 0x4e441529, v9, v[2:3]
	s_delay_alu instid0(VALU_DEP_1) | instskip(NEXT) | instid1(VALU_DEP_2)
	v_mov_b32_e32 v2, v16
	v_cndmask_b32_e32 v10, v15, v13, vcc_lo
	s_delay_alu instid0(VALU_DEP_2) | instskip(SKIP_2) | instid1(VALU_DEP_1)
	v_mad_co_u64_u32 v[16:17], null, 0xa2f9836e, v9, v[2:3]
	s_wait_alu 0xf1ff
	v_cndmask_b32_e64 v2, 0, 0xffffffe0, s4
	v_add_nc_u32_e32 v2, v2, v8
	s_delay_alu instid0(VALU_DEP_3) | instskip(SKIP_1) | instid1(VALU_DEP_3)
	v_dual_cndmask_b32 v16, v16, v14 :: v_dual_cndmask_b32 v15, v17, v15
	v_cndmask_b32_e32 v14, v14, v12, vcc_lo
	v_cmp_eq_u32_e32 vcc_lo, 0, v2
	s_delay_alu instid0(VALU_DEP_3) | instskip(NEXT) | instid1(VALU_DEP_4)
	v_cndmask_b32_e64 v8, v16, v10, s3
	v_cndmask_b32_e64 v13, v15, v16, s3
	s_delay_alu instid0(VALU_DEP_4) | instskip(SKIP_2) | instid1(VALU_DEP_4)
	v_cndmask_b32_e64 v10, v10, v14, s3
	v_sub_nc_u32_e32 v15, 32, v2
	v_cndmask_b32_e64 v14, v14, v7, s3
	v_cndmask_b32_e64 v13, v13, v8, s4
	s_delay_alu instid0(VALU_DEP_4) | instskip(NEXT) | instid1(VALU_DEP_3)
	v_cndmask_b32_e64 v8, v8, v10, s4
	v_cndmask_b32_e64 v10, v10, v14, s4
	;; [unrolled: 1-line block ×3, first 2 shown]
	s_delay_alu instid0(VALU_DEP_3) | instskip(NEXT) | instid1(VALU_DEP_3)
	v_alignbit_b32 v16, v13, v8, v15
	v_alignbit_b32 v12, v8, v10, v15
	s_delay_alu instid0(VALU_DEP_3) | instskip(SKIP_1) | instid1(VALU_DEP_3)
	v_alignbit_b32 v14, v10, v6, v15
	s_wait_alu 0xfffd
	v_cndmask_b32_e32 v2, v16, v13, vcc_lo
	s_delay_alu instid0(VALU_DEP_2) | instskip(NEXT) | instid1(VALU_DEP_2)
	v_dual_cndmask_b32 v7, v12, v8 :: v_dual_cndmask_b32 v10, v14, v10
	v_bfe_u32 v8, v2, 29, 1
	s_delay_alu instid0(VALU_DEP_2) | instskip(NEXT) | instid1(VALU_DEP_3)
	v_alignbit_b32 v12, v2, v7, 30
	v_alignbit_b32 v7, v7, v10, 30
	;; [unrolled: 1-line block ×3, first 2 shown]
	s_delay_alu instid0(VALU_DEP_4) | instskip(NEXT) | instid1(VALU_DEP_1)
	v_sub_nc_u32_e32 v13, 0, v8
	v_xor_b32_e32 v12, v12, v13
	s_delay_alu instid0(VALU_DEP_4) | instskip(NEXT) | instid1(VALU_DEP_4)
	v_xor_b32_e32 v7, v7, v13
	v_xor_b32_e32 v6, v6, v13
	v_lshrrev_b32_e32 v13, 29, v2
	v_lshrrev_b32_e32 v2, 30, v2
	v_clz_i32_u32_e32 v14, v12
	s_delay_alu instid0(VALU_DEP_1) | instskip(NEXT) | instid1(VALU_DEP_1)
	v_min_u32_e32 v14, 32, v14
	v_sub_nc_u32_e32 v10, 31, v14
	v_lshlrev_b32_e32 v15, 23, v14
	s_delay_alu instid0(VALU_DEP_2) | instskip(SKIP_2) | instid1(VALU_DEP_2)
	v_alignbit_b32 v12, v12, v7, v10
	v_alignbit_b32 v6, v7, v6, v10
	v_lshlrev_b32_e32 v7, 31, v13
	v_alignbit_b32 v10, v12, v6, 9
	s_delay_alu instid0(VALU_DEP_2) | instskip(SKIP_2) | instid1(VALU_DEP_4)
	v_or_b32_e32 v13, 0.5, v7
	v_lshrrev_b32_e32 v12, 9, v12
	v_or_b32_e32 v7, 0x33000000, v7
	v_clz_i32_u32_e32 v16, v10
	s_delay_alu instid0(VALU_DEP_4) | instskip(NEXT) | instid1(VALU_DEP_2)
	v_sub_nc_u32_e32 v13, v13, v15
	v_min_u32_e32 v15, 32, v16
	s_delay_alu instid0(VALU_DEP_2) | instskip(NEXT) | instid1(VALU_DEP_2)
	v_or_b32_e32 v12, v12, v13
	v_not_b32_e32 v13, v15
	s_delay_alu instid0(VALU_DEP_2) | instskip(SKIP_1) | instid1(VALU_DEP_3)
	v_mul_f32_e32 v16, 0x3fc90fda, v12
	v_add_lshl_u32 v14, v15, v14, 23
	v_alignbit_b32 v6, v10, v6, v13
	s_delay_alu instid0(VALU_DEP_3) | instskip(NEXT) | instid1(VALU_DEP_3)
	v_fma_f32 v10, 0x3fc90fda, v12, -v16
	v_sub_nc_u32_e32 v7, v7, v14
	s_delay_alu instid0(VALU_DEP_3) | instskip(NEXT) | instid1(VALU_DEP_3)
	v_lshrrev_b32_e32 v6, 9, v6
	v_fmac_f32_e32 v10, 0x33a22168, v12
	s_delay_alu instid0(VALU_DEP_2) | instskip(SKIP_1) | instid1(VALU_DEP_2)
	v_or_b32_e32 v6, v7, v6
	v_add_nc_u32_e32 v7, v8, v2
	v_fmac_f32_e32 v10, 0x3fc90fda, v6
	s_delay_alu instid0(VALU_DEP_1)
	v_add_f32_e32 v6, v16, v10
.LBB7_4:                                ;   in Loop: Header=BB7_2 Depth=1
	s_or_saveexec_b32 s3, s29
	v_mul_f32_e64 v2, 0x3f22f983, |v4|
	s_delay_alu instid0(VALU_DEP_1)
	v_rndne_f32_e32 v2, v2
	s_wait_alu 0xfffe
	s_xor_b32 exec_lo, exec_lo, s3
; %bb.5:                                ;   in Loop: Header=BB7_2 Depth=1
	s_delay_alu instid0(VALU_DEP_1) | instskip(SKIP_1) | instid1(VALU_DEP_2)
	v_fma_f32 v6, 0xbfc90fda, v2, |v4|
	v_cvt_i32_f32_e32 v7, v2
	v_fmac_f32_e32 v6, 0xb3a22168, v2
	s_delay_alu instid0(VALU_DEP_1)
	v_fmac_f32_e32 v6, 0xa7c234c4, v2
; %bb.6:                                ;   in Loop: Header=BB7_2 Depth=1
	s_or_b32 exec_lo, exec_lo, s3
                                        ; implicit-def: $vgpr10
                                        ; implicit-def: $vgpr8
	s_and_saveexec_b32 s3, s28
	s_wait_alu 0xfffe
	s_xor_b32 s28, exec_lo, s3
	s_cbranch_execz .LBB7_8
; %bb.7:                                ;   in Loop: Header=BB7_2 Depth=1
	v_mad_co_u64_u32 v[12:13], null, 0xfe5163ab, v9, 0
	v_cmp_lt_u32_e32 vcc_lo, 63, v11
	s_wait_alu 0xfffd
	v_cndmask_b32_e64 v8, 0, 0xffffffc0, vcc_lo
	s_delay_alu instid0(VALU_DEP_3) | instskip(NEXT) | instid1(VALU_DEP_2)
	v_mov_b32_e32 v2, v13
	v_add_nc_u32_e32 v8, v8, v11
	s_delay_alu instid0(VALU_DEP_2) | instskip(NEXT) | instid1(VALU_DEP_2)
	v_mad_co_u64_u32 v[13:14], null, 0x3c439041, v9, v[2:3]
	v_cmp_lt_u32_e64 s3, 31, v8
	s_delay_alu instid0(VALU_DEP_2) | instskip(NEXT) | instid1(VALU_DEP_1)
	v_mov_b32_e32 v2, v14
	v_mad_co_u64_u32 v[14:15], null, 0xdb629599, v9, v[2:3]
	s_delay_alu instid0(VALU_DEP_1) | instskip(NEXT) | instid1(VALU_DEP_2)
	v_mov_b32_e32 v2, v15
	v_cndmask_b32_e32 v12, v14, v12, vcc_lo
	s_delay_alu instid0(VALU_DEP_2) | instskip(NEXT) | instid1(VALU_DEP_1)
	v_mad_co_u64_u32 v[15:16], null, 0xf534ddc0, v9, v[2:3]
	v_mov_b32_e32 v2, v16
	s_delay_alu instid0(VALU_DEP_1) | instskip(NEXT) | instid1(VALU_DEP_1)
	v_mad_co_u64_u32 v[16:17], null, 0xfc2757d1, v9, v[2:3]
	v_mov_b32_e32 v2, v17
	s_wait_alu 0xf1ff
	v_cndmask_b32_e64 v17, 0, 0xffffffe0, s3
	s_delay_alu instid0(VALU_DEP_2) | instskip(NEXT) | instid1(VALU_DEP_1)
	v_mad_co_u64_u32 v[10:11], null, 0x4e441529, v9, v[2:3]
	v_dual_mov_b32 v2, v11 :: v_dual_add_nc_u32 v11, v17, v8
	s_delay_alu instid0(VALU_DEP_2) | instskip(NEXT) | instid1(VALU_DEP_2)
	v_cndmask_b32_e32 v17, v10, v15, vcc_lo
	v_mad_co_u64_u32 v[8:9], null, 0xa2f9836e, v9, v[2:3]
	s_delay_alu instid0(VALU_DEP_3) | instskip(SKIP_1) | instid1(VALU_DEP_1)
	v_cmp_lt_u32_e64 s4, 31, v11
	s_wait_alu 0xf1ff
	v_cndmask_b32_e64 v2, 0, 0xffffffe0, s4
	s_delay_alu instid0(VALU_DEP_3) | instskip(SKIP_1) | instid1(VALU_DEP_3)
	v_dual_cndmask_b32 v8, v8, v16 :: v_dual_cndmask_b32 v9, v9, v10
	v_cndmask_b32_e32 v10, v16, v14, vcc_lo
	v_dual_cndmask_b32 v11, v15, v13 :: v_dual_add_nc_u32 v2, v2, v11
	s_delay_alu instid0(VALU_DEP_3) | instskip(NEXT) | instid1(VALU_DEP_4)
	v_cndmask_b32_e64 v13, v8, v17, s3
	v_cndmask_b32_e64 v8, v9, v8, s3
	s_delay_alu instid0(VALU_DEP_4) | instskip(NEXT) | instid1(VALU_DEP_4)
	v_cndmask_b32_e64 v9, v17, v10, s3
	v_sub_nc_u32_e32 v15, 32, v2
	v_cndmask_b32_e64 v10, v10, v11, s3
	v_cmp_eq_u32_e32 vcc_lo, 0, v2
	v_cndmask_b32_e64 v8, v8, v13, s4
	v_cndmask_b32_e64 v13, v13, v9, s4
	s_delay_alu instid0(VALU_DEP_4) | instskip(NEXT) | instid1(VALU_DEP_2)
	v_cndmask_b32_e64 v9, v9, v10, s4
	v_alignbit_b32 v16, v8, v13, v15
	s_delay_alu instid0(VALU_DEP_2) | instskip(SKIP_1) | instid1(VALU_DEP_2)
	v_alignbit_b32 v14, v13, v9, v15
	s_wait_alu 0xfffd
	v_cndmask_b32_e32 v2, v16, v8, vcc_lo
	v_cndmask_b32_e64 v8, v11, v12, s3
	s_delay_alu instid0(VALU_DEP_3) | instskip(NEXT) | instid1(VALU_DEP_3)
	v_cndmask_b32_e32 v11, v14, v13, vcc_lo
	v_bfe_u32 v12, v2, 29, 1
	s_delay_alu instid0(VALU_DEP_3) | instskip(NEXT) | instid1(VALU_DEP_3)
	v_cndmask_b32_e64 v8, v10, v8, s4
	v_alignbit_b32 v10, v2, v11, 30
	s_delay_alu instid0(VALU_DEP_3) | instskip(NEXT) | instid1(VALU_DEP_3)
	v_sub_nc_u32_e32 v13, 0, v12
	v_alignbit_b32 v14, v9, v8, v15
	s_delay_alu instid0(VALU_DEP_2) | instskip(NEXT) | instid1(VALU_DEP_2)
	v_xor_b32_e32 v10, v10, v13
	v_cndmask_b32_e32 v9, v14, v9, vcc_lo
	s_delay_alu instid0(VALU_DEP_2) | instskip(NEXT) | instid1(VALU_DEP_2)
	v_clz_i32_u32_e32 v14, v10
	v_alignbit_b32 v11, v11, v9, 30
	v_alignbit_b32 v8, v9, v8, 30
	s_delay_alu instid0(VALU_DEP_3) | instskip(NEXT) | instid1(VALU_DEP_3)
	v_min_u32_e32 v14, 32, v14
	v_xor_b32_e32 v9, v11, v13
	s_delay_alu instid0(VALU_DEP_3) | instskip(SKIP_4) | instid1(VALU_DEP_2)
	v_xor_b32_e32 v8, v8, v13
	v_lshrrev_b32_e32 v13, 29, v2
	v_lshrrev_b32_e32 v2, 30, v2
	v_sub_nc_u32_e32 v11, 31, v14
	v_lshlrev_b32_e32 v15, 23, v14
	v_alignbit_b32 v10, v10, v9, v11
	v_alignbit_b32 v8, v9, v8, v11
	v_lshlrev_b32_e32 v9, 31, v13
	s_delay_alu instid0(VALU_DEP_2) | instskip(NEXT) | instid1(VALU_DEP_2)
	v_alignbit_b32 v11, v10, v8, 9
	v_or_b32_e32 v13, 0.5, v9
	v_lshrrev_b32_e32 v10, 9, v10
	v_or_b32_e32 v9, 0x33000000, v9
	s_delay_alu instid0(VALU_DEP_4) | instskip(NEXT) | instid1(VALU_DEP_4)
	v_clz_i32_u32_e32 v16, v11
	v_sub_nc_u32_e32 v13, v13, v15
	s_delay_alu instid0(VALU_DEP_2) | instskip(NEXT) | instid1(VALU_DEP_2)
	v_min_u32_e32 v15, 32, v16
	v_or_b32_e32 v10, v10, v13
	s_delay_alu instid0(VALU_DEP_2) | instskip(NEXT) | instid1(VALU_DEP_2)
	v_not_b32_e32 v13, v15
	v_mul_f32_e32 v16, 0x3fc90fda, v10
	v_add_lshl_u32 v14, v15, v14, 23
	s_delay_alu instid0(VALU_DEP_3) | instskip(NEXT) | instid1(VALU_DEP_3)
	v_alignbit_b32 v8, v11, v8, v13
	v_fma_f32 v11, 0x3fc90fda, v10, -v16
	s_delay_alu instid0(VALU_DEP_3) | instskip(NEXT) | instid1(VALU_DEP_3)
	v_sub_nc_u32_e32 v9, v9, v14
	v_lshrrev_b32_e32 v8, 9, v8
	s_delay_alu instid0(VALU_DEP_3) | instskip(SKIP_1) | instid1(VALU_DEP_3)
	v_fmac_f32_e32 v11, 0x33a22168, v10
	v_add_nc_u32_e32 v10, v12, v2
                                        ; implicit-def: $vgpr2
	v_or_b32_e32 v8, v9, v8
	s_delay_alu instid0(VALU_DEP_1) | instskip(NEXT) | instid1(VALU_DEP_1)
	v_fmac_f32_e32 v11, 0x3fc90fda, v8
	v_add_f32_e32 v8, v16, v11
	s_and_not1_saveexec_b32 s3, s28
	s_cbranch_execnz .LBB7_9
	s_branch .LBB7_10
.LBB7_8:                                ;   in Loop: Header=BB7_2 Depth=1
	s_and_not1_saveexec_b32 s3, s28
.LBB7_9:                                ;   in Loop: Header=BB7_2 Depth=1
	v_fma_f32 v8, 0xbfc90fda, v2, |v4|
	v_cvt_i32_f32_e32 v10, v2
	s_delay_alu instid0(VALU_DEP_2) | instskip(NEXT) | instid1(VALU_DEP_1)
	v_fmac_f32_e32 v8, 0xb3a22168, v2
	v_fmac_f32_e32 v8, 0xa7c234c4, v2
.LBB7_10:                               ;   in Loop: Header=BB7_2 Depth=1
	s_wait_alu 0xfffe
	s_or_b32 exec_lo, exec_lo, s3
	v_add_co_u32 v11, vcc_lo, s14, v0
	s_wait_alu 0xfffd
	v_add_co_ci_u32_e64 v12, null, s15, v1, vcc_lo
                                        ; implicit-def: $vgpr13
	global_load_b32 v9, v[11:12], off
                                        ; implicit-def: $vgpr12
	s_wait_loadcnt 0x0
	v_and_b32_e32 v11, 0x7fffffff, v9
	v_cmp_ngt_f32_e64 s28, 0x48000000, |v9|
	s_delay_alu instid0(VALU_DEP_2) | instskip(SKIP_1) | instid1(VALU_DEP_2)
	v_lshrrev_b32_e32 v2, 23, v11
	v_and_or_b32 v15, v11, s25, 0x800000
	v_add_nc_u32_e32 v17, 0xffffff88, v2
	s_and_saveexec_b32 s3, s28
	s_wait_alu 0xfffe
	s_xor_b32 s29, exec_lo, s3
	s_cbranch_execz .LBB7_12
; %bb.11:                               ;   in Loop: Header=BB7_2 Depth=1
	v_mad_co_u64_u32 v[12:13], null, 0xfe5163ab, v15, 0
	v_cmp_lt_u32_e32 vcc_lo, 63, v17
	s_delay_alu instid0(VALU_DEP_2) | instskip(NEXT) | instid1(VALU_DEP_1)
	v_mov_b32_e32 v2, v13
	v_mad_co_u64_u32 v[13:14], null, 0x3c439041, v15, v[2:3]
	s_delay_alu instid0(VALU_DEP_1) | instskip(SKIP_2) | instid1(VALU_DEP_2)
	v_mov_b32_e32 v2, v14
	s_wait_alu 0xfffd
	v_cndmask_b32_e64 v14, 0, 0xffffffc0, vcc_lo
	v_mad_co_u64_u32 v[18:19], null, 0xdb629599, v15, v[2:3]
	s_delay_alu instid0(VALU_DEP_2) | instskip(NEXT) | instid1(VALU_DEP_1)
	v_add_nc_u32_e32 v14, v14, v17
	v_cmp_lt_u32_e64 s3, 31, v14
	s_delay_alu instid0(VALU_DEP_3) | instskip(NEXT) | instid1(VALU_DEP_4)
	v_mov_b32_e32 v2, v19
	v_cndmask_b32_e32 v12, v18, v12, vcc_lo
	s_wait_alu 0xf1ff
	s_delay_alu instid0(VALU_DEP_3) | instskip(NEXT) | instid1(VALU_DEP_3)
	v_cndmask_b32_e64 v16, 0, 0xffffffe0, s3
	v_mad_co_u64_u32 v[19:20], null, 0xf534ddc0, v15, v[2:3]
	s_delay_alu instid0(VALU_DEP_2) | instskip(NEXT) | instid1(VALU_DEP_2)
	v_add_nc_u32_e32 v14, v16, v14
	v_mov_b32_e32 v2, v20
	s_delay_alu instid0(VALU_DEP_2) | instskip(NEXT) | instid1(VALU_DEP_4)
	v_cmp_lt_u32_e64 s4, 31, v14
	v_cndmask_b32_e32 v13, v19, v13, vcc_lo
	s_delay_alu instid0(VALU_DEP_3) | instskip(NEXT) | instid1(VALU_DEP_2)
	v_mad_co_u64_u32 v[20:21], null, 0xfc2757d1, v15, v[2:3]
	v_cndmask_b32_e64 v12, v13, v12, s3
	s_delay_alu instid0(VALU_DEP_2) | instskip(NEXT) | instid1(VALU_DEP_1)
	v_mov_b32_e32 v2, v21
	v_mad_co_u64_u32 v[21:22], null, 0x4e441529, v15, v[2:3]
	s_delay_alu instid0(VALU_DEP_1) | instskip(NEXT) | instid1(VALU_DEP_2)
	v_mov_b32_e32 v2, v22
	v_cndmask_b32_e32 v16, v21, v19, vcc_lo
	s_delay_alu instid0(VALU_DEP_2) | instskip(SKIP_2) | instid1(VALU_DEP_1)
	v_mad_co_u64_u32 v[22:23], null, 0xa2f9836e, v15, v[2:3]
	s_wait_alu 0xf1ff
	v_cndmask_b32_e64 v2, 0, 0xffffffe0, s4
	v_add_nc_u32_e32 v2, v2, v14
	s_delay_alu instid0(VALU_DEP_3) | instskip(SKIP_1) | instid1(VALU_DEP_3)
	v_dual_cndmask_b32 v22, v22, v20 :: v_dual_cndmask_b32 v21, v23, v21
	v_cndmask_b32_e32 v20, v20, v18, vcc_lo
	v_cmp_eq_u32_e32 vcc_lo, 0, v2
	s_delay_alu instid0(VALU_DEP_3) | instskip(NEXT) | instid1(VALU_DEP_4)
	v_cndmask_b32_e64 v14, v22, v16, s3
	v_cndmask_b32_e64 v19, v21, v22, s3
	s_delay_alu instid0(VALU_DEP_4) | instskip(SKIP_2) | instid1(VALU_DEP_4)
	v_cndmask_b32_e64 v16, v16, v20, s3
	v_sub_nc_u32_e32 v21, 32, v2
	v_cndmask_b32_e64 v20, v20, v13, s3
	v_cndmask_b32_e64 v19, v19, v14, s4
	s_delay_alu instid0(VALU_DEP_4) | instskip(NEXT) | instid1(VALU_DEP_3)
	v_cndmask_b32_e64 v14, v14, v16, s4
	v_cndmask_b32_e64 v16, v16, v20, s4
	v_cndmask_b32_e64 v12, v20, v12, s4
	s_delay_alu instid0(VALU_DEP_3) | instskip(NEXT) | instid1(VALU_DEP_3)
	v_alignbit_b32 v22, v19, v14, v21
	v_alignbit_b32 v18, v14, v16, v21
	s_delay_alu instid0(VALU_DEP_3) | instskip(SKIP_1) | instid1(VALU_DEP_3)
	v_alignbit_b32 v20, v16, v12, v21
	s_wait_alu 0xfffd
	v_cndmask_b32_e32 v2, v22, v19, vcc_lo
	s_delay_alu instid0(VALU_DEP_2) | instskip(NEXT) | instid1(VALU_DEP_2)
	v_dual_cndmask_b32 v13, v18, v14 :: v_dual_cndmask_b32 v16, v20, v16
	v_bfe_u32 v14, v2, 29, 1
	s_delay_alu instid0(VALU_DEP_2) | instskip(NEXT) | instid1(VALU_DEP_3)
	v_alignbit_b32 v18, v2, v13, 30
	v_alignbit_b32 v13, v13, v16, 30
	;; [unrolled: 1-line block ×3, first 2 shown]
	s_delay_alu instid0(VALU_DEP_4) | instskip(NEXT) | instid1(VALU_DEP_1)
	v_sub_nc_u32_e32 v19, 0, v14
	v_xor_b32_e32 v18, v18, v19
	s_delay_alu instid0(VALU_DEP_4) | instskip(NEXT) | instid1(VALU_DEP_4)
	v_xor_b32_e32 v13, v13, v19
	v_xor_b32_e32 v12, v12, v19
	v_lshrrev_b32_e32 v19, 29, v2
	v_lshrrev_b32_e32 v2, 30, v2
	v_clz_i32_u32_e32 v20, v18
	s_delay_alu instid0(VALU_DEP_1) | instskip(NEXT) | instid1(VALU_DEP_1)
	v_min_u32_e32 v20, 32, v20
	v_sub_nc_u32_e32 v16, 31, v20
	v_lshlrev_b32_e32 v21, 23, v20
	s_delay_alu instid0(VALU_DEP_2) | instskip(SKIP_2) | instid1(VALU_DEP_2)
	v_alignbit_b32 v18, v18, v13, v16
	v_alignbit_b32 v12, v13, v12, v16
	v_lshlrev_b32_e32 v13, 31, v19
	v_alignbit_b32 v16, v18, v12, 9
	s_delay_alu instid0(VALU_DEP_2) | instskip(SKIP_2) | instid1(VALU_DEP_4)
	v_or_b32_e32 v19, 0.5, v13
	v_lshrrev_b32_e32 v18, 9, v18
	v_or_b32_e32 v13, 0x33000000, v13
	v_clz_i32_u32_e32 v22, v16
	s_delay_alu instid0(VALU_DEP_4) | instskip(NEXT) | instid1(VALU_DEP_2)
	v_sub_nc_u32_e32 v19, v19, v21
	v_min_u32_e32 v21, 32, v22
	s_delay_alu instid0(VALU_DEP_2) | instskip(NEXT) | instid1(VALU_DEP_2)
	v_or_b32_e32 v18, v18, v19
	v_not_b32_e32 v19, v21
	s_delay_alu instid0(VALU_DEP_2) | instskip(SKIP_1) | instid1(VALU_DEP_3)
	v_mul_f32_e32 v22, 0x3fc90fda, v18
	v_add_lshl_u32 v20, v21, v20, 23
	v_alignbit_b32 v12, v16, v12, v19
	s_delay_alu instid0(VALU_DEP_3) | instskip(NEXT) | instid1(VALU_DEP_3)
	v_fma_f32 v16, 0x3fc90fda, v18, -v22
	v_sub_nc_u32_e32 v13, v13, v20
	s_delay_alu instid0(VALU_DEP_3) | instskip(NEXT) | instid1(VALU_DEP_3)
	v_lshrrev_b32_e32 v12, 9, v12
	v_fmac_f32_e32 v16, 0x33a22168, v18
	s_delay_alu instid0(VALU_DEP_2) | instskip(NEXT) | instid1(VALU_DEP_1)
	v_or_b32_e32 v12, v13, v12
	v_dual_fmac_f32 v16, 0x3fc90fda, v12 :: v_dual_add_nc_u32 v13, v14, v2
	s_delay_alu instid0(VALU_DEP_1)
	v_add_f32_e32 v12, v22, v16
.LBB7_12:                               ;   in Loop: Header=BB7_2 Depth=1
	s_or_saveexec_b32 s3, s29
	v_mul_f32_e64 v2, 0x3f22f983, |v9|
	s_delay_alu instid0(VALU_DEP_1)
	v_rndne_f32_e32 v2, v2
	s_wait_alu 0xfffe
	s_xor_b32 exec_lo, exec_lo, s3
; %bb.13:                               ;   in Loop: Header=BB7_2 Depth=1
	s_delay_alu instid0(VALU_DEP_1) | instskip(SKIP_1) | instid1(VALU_DEP_2)
	v_fma_f32 v12, 0xbfc90fda, v2, |v9|
	v_cvt_i32_f32_e32 v13, v2
	v_fmac_f32_e32 v12, 0xb3a22168, v2
	s_delay_alu instid0(VALU_DEP_1)
	v_fmac_f32_e32 v12, 0xa7c234c4, v2
; %bb.14:                               ;   in Loop: Header=BB7_2 Depth=1
	s_or_b32 exec_lo, exec_lo, s3
                                        ; implicit-def: $vgpr16
                                        ; implicit-def: $vgpr14
	s_and_saveexec_b32 s3, s28
	s_wait_alu 0xfffe
	s_xor_b32 s28, exec_lo, s3
	s_cbranch_execz .LBB7_16
; %bb.15:                               ;   in Loop: Header=BB7_2 Depth=1
	v_mad_co_u64_u32 v[18:19], null, 0xfe5163ab, v15, 0
	v_cmp_lt_u32_e32 vcc_lo, 63, v17
	s_wait_alu 0xfffd
	v_cndmask_b32_e64 v14, 0, 0xffffffc0, vcc_lo
	s_delay_alu instid0(VALU_DEP_3) | instskip(NEXT) | instid1(VALU_DEP_2)
	v_mov_b32_e32 v2, v19
	v_add_nc_u32_e32 v14, v14, v17
	s_delay_alu instid0(VALU_DEP_2) | instskip(NEXT) | instid1(VALU_DEP_2)
	v_mad_co_u64_u32 v[19:20], null, 0x3c439041, v15, v[2:3]
	v_cmp_lt_u32_e64 s3, 31, v14
	s_delay_alu instid0(VALU_DEP_2) | instskip(NEXT) | instid1(VALU_DEP_1)
	v_mov_b32_e32 v2, v20
	v_mad_co_u64_u32 v[20:21], null, 0xdb629599, v15, v[2:3]
	s_delay_alu instid0(VALU_DEP_1) | instskip(NEXT) | instid1(VALU_DEP_2)
	v_mov_b32_e32 v2, v21
	v_cndmask_b32_e32 v18, v20, v18, vcc_lo
	s_delay_alu instid0(VALU_DEP_2) | instskip(NEXT) | instid1(VALU_DEP_1)
	v_mad_co_u64_u32 v[21:22], null, 0xf534ddc0, v15, v[2:3]
	v_mov_b32_e32 v2, v22
	s_delay_alu instid0(VALU_DEP_1) | instskip(NEXT) | instid1(VALU_DEP_1)
	v_mad_co_u64_u32 v[22:23], null, 0xfc2757d1, v15, v[2:3]
	v_mov_b32_e32 v2, v23
	s_wait_alu 0xf1ff
	v_cndmask_b32_e64 v23, 0, 0xffffffe0, s3
	s_delay_alu instid0(VALU_DEP_2) | instskip(NEXT) | instid1(VALU_DEP_1)
	v_mad_co_u64_u32 v[16:17], null, 0x4e441529, v15, v[2:3]
	v_dual_mov_b32 v2, v17 :: v_dual_add_nc_u32 v17, v23, v14
	s_delay_alu instid0(VALU_DEP_2) | instskip(NEXT) | instid1(VALU_DEP_2)
	v_cndmask_b32_e32 v23, v16, v21, vcc_lo
	v_mad_co_u64_u32 v[14:15], null, 0xa2f9836e, v15, v[2:3]
	s_delay_alu instid0(VALU_DEP_3) | instskip(SKIP_1) | instid1(VALU_DEP_1)
	v_cmp_lt_u32_e64 s4, 31, v17
	s_wait_alu 0xf1ff
	v_cndmask_b32_e64 v2, 0, 0xffffffe0, s4
	s_delay_alu instid0(VALU_DEP_3) | instskip(SKIP_1) | instid1(VALU_DEP_3)
	v_dual_cndmask_b32 v14, v14, v22 :: v_dual_cndmask_b32 v15, v15, v16
	v_cndmask_b32_e32 v16, v22, v20, vcc_lo
	v_dual_cndmask_b32 v17, v21, v19 :: v_dual_add_nc_u32 v2, v2, v17
	s_delay_alu instid0(VALU_DEP_3) | instskip(NEXT) | instid1(VALU_DEP_4)
	v_cndmask_b32_e64 v19, v14, v23, s3
	v_cndmask_b32_e64 v14, v15, v14, s3
	s_delay_alu instid0(VALU_DEP_4) | instskip(NEXT) | instid1(VALU_DEP_4)
	v_cndmask_b32_e64 v15, v23, v16, s3
	v_sub_nc_u32_e32 v21, 32, v2
	v_cndmask_b32_e64 v16, v16, v17, s3
	v_cmp_eq_u32_e32 vcc_lo, 0, v2
	v_cndmask_b32_e64 v14, v14, v19, s4
	v_cndmask_b32_e64 v19, v19, v15, s4
	s_delay_alu instid0(VALU_DEP_4) | instskip(NEXT) | instid1(VALU_DEP_2)
	v_cndmask_b32_e64 v15, v15, v16, s4
	v_alignbit_b32 v22, v14, v19, v21
	s_delay_alu instid0(VALU_DEP_2) | instskip(SKIP_1) | instid1(VALU_DEP_2)
	v_alignbit_b32 v20, v19, v15, v21
	s_wait_alu 0xfffd
	v_cndmask_b32_e32 v2, v22, v14, vcc_lo
	v_cndmask_b32_e64 v14, v17, v18, s3
	s_delay_alu instid0(VALU_DEP_3) | instskip(NEXT) | instid1(VALU_DEP_3)
	v_cndmask_b32_e32 v17, v20, v19, vcc_lo
	v_bfe_u32 v18, v2, 29, 1
	s_delay_alu instid0(VALU_DEP_3) | instskip(NEXT) | instid1(VALU_DEP_3)
	v_cndmask_b32_e64 v14, v16, v14, s4
	v_alignbit_b32 v16, v2, v17, 30
	s_delay_alu instid0(VALU_DEP_3) | instskip(NEXT) | instid1(VALU_DEP_3)
	v_sub_nc_u32_e32 v19, 0, v18
	v_alignbit_b32 v20, v15, v14, v21
	s_delay_alu instid0(VALU_DEP_2) | instskip(NEXT) | instid1(VALU_DEP_2)
	v_xor_b32_e32 v16, v16, v19
	v_cndmask_b32_e32 v15, v20, v15, vcc_lo
	s_delay_alu instid0(VALU_DEP_2) | instskip(NEXT) | instid1(VALU_DEP_2)
	v_clz_i32_u32_e32 v20, v16
	v_alignbit_b32 v17, v17, v15, 30
	v_alignbit_b32 v14, v15, v14, 30
	s_delay_alu instid0(VALU_DEP_3) | instskip(NEXT) | instid1(VALU_DEP_3)
	v_min_u32_e32 v20, 32, v20
	v_xor_b32_e32 v15, v17, v19
	s_delay_alu instid0(VALU_DEP_3) | instskip(SKIP_4) | instid1(VALU_DEP_2)
	v_xor_b32_e32 v14, v14, v19
	v_lshrrev_b32_e32 v19, 29, v2
	v_lshrrev_b32_e32 v2, 30, v2
	v_sub_nc_u32_e32 v17, 31, v20
	v_lshlrev_b32_e32 v21, 23, v20
	v_alignbit_b32 v16, v16, v15, v17
	v_alignbit_b32 v14, v15, v14, v17
	v_lshlrev_b32_e32 v15, 31, v19
	s_delay_alu instid0(VALU_DEP_2) | instskip(NEXT) | instid1(VALU_DEP_2)
	v_alignbit_b32 v17, v16, v14, 9
	v_or_b32_e32 v19, 0.5, v15
	v_lshrrev_b32_e32 v16, 9, v16
	v_or_b32_e32 v15, 0x33000000, v15
	s_delay_alu instid0(VALU_DEP_4) | instskip(NEXT) | instid1(VALU_DEP_4)
	v_clz_i32_u32_e32 v22, v17
	v_sub_nc_u32_e32 v19, v19, v21
	s_delay_alu instid0(VALU_DEP_2) | instskip(NEXT) | instid1(VALU_DEP_2)
	v_min_u32_e32 v21, 32, v22
	v_or_b32_e32 v16, v16, v19
	s_delay_alu instid0(VALU_DEP_2) | instskip(NEXT) | instid1(VALU_DEP_2)
	v_not_b32_e32 v19, v21
	v_mul_f32_e32 v22, 0x3fc90fda, v16
	v_add_lshl_u32 v20, v21, v20, 23
	s_delay_alu instid0(VALU_DEP_3) | instskip(NEXT) | instid1(VALU_DEP_3)
	v_alignbit_b32 v14, v17, v14, v19
	v_fma_f32 v17, 0x3fc90fda, v16, -v22
	s_delay_alu instid0(VALU_DEP_3) | instskip(NEXT) | instid1(VALU_DEP_3)
	v_sub_nc_u32_e32 v15, v15, v20
	v_lshrrev_b32_e32 v14, 9, v14
	s_delay_alu instid0(VALU_DEP_3) | instskip(NEXT) | instid1(VALU_DEP_2)
	v_dual_fmac_f32 v17, 0x33a22168, v16 :: v_dual_add_nc_u32 v16, v18, v2
                                        ; implicit-def: $vgpr2
	v_or_b32_e32 v14, v15, v14
	s_delay_alu instid0(VALU_DEP_1) | instskip(NEXT) | instid1(VALU_DEP_1)
	v_fmac_f32_e32 v17, 0x3fc90fda, v14
	v_add_f32_e32 v14, v22, v17
	s_and_not1_saveexec_b32 s3, s28
	s_cbranch_execnz .LBB7_17
	s_branch .LBB7_18
.LBB7_16:                               ;   in Loop: Header=BB7_2 Depth=1
	s_and_not1_saveexec_b32 s3, s28
.LBB7_17:                               ;   in Loop: Header=BB7_2 Depth=1
	v_fma_f32 v14, 0xbfc90fda, v2, |v9|
	v_cvt_i32_f32_e32 v16, v2
	s_delay_alu instid0(VALU_DEP_2) | instskip(NEXT) | instid1(VALU_DEP_1)
	v_fmac_f32_e32 v14, 0xb3a22168, v2
	v_fmac_f32_e32 v14, 0xa7c234c4, v2
.LBB7_18:                               ;   in Loop: Header=BB7_2 Depth=1
	s_wait_alu 0xfffe
	s_or_b32 exec_lo, exec_lo, s3
	v_add_co_u32 v17, vcc_lo, s16, v0
	s_wait_alu 0xfffd
	v_add_co_ci_u32_e64 v18, null, s17, v1, vcc_lo
                                        ; implicit-def: $vgpr19
	global_load_b32 v15, v[17:18], off
                                        ; implicit-def: $vgpr18
	s_wait_loadcnt 0x0
	v_and_b32_e32 v17, 0x7fffffff, v15
	v_cmp_ngt_f32_e64 s28, 0x48000000, |v15|
	s_delay_alu instid0(VALU_DEP_2) | instskip(SKIP_1) | instid1(VALU_DEP_2)
	v_lshrrev_b32_e32 v2, 23, v17
	v_and_or_b32 v20, v17, s25, 0x800000
	v_add_nc_u32_e32 v21, 0xffffff88, v2
	s_and_saveexec_b32 s3, s28
	s_wait_alu 0xfffe
	s_xor_b32 s29, exec_lo, s3
	s_cbranch_execz .LBB7_20
; %bb.19:                               ;   in Loop: Header=BB7_2 Depth=1
	v_mad_co_u64_u32 v[18:19], null, 0xfe5163ab, v20, 0
	v_cmp_lt_u32_e32 vcc_lo, 63, v21
	s_delay_alu instid0(VALU_DEP_2) | instskip(SKIP_2) | instid1(VALU_DEP_1)
	v_mov_b32_e32 v2, v19
	s_wait_alu 0xfffd
	v_cndmask_b32_e64 v19, 0, 0xffffffc0, vcc_lo
	v_add_nc_u32_e32 v19, v19, v21
	s_delay_alu instid0(VALU_DEP_1) | instskip(SKIP_1) | instid1(VALU_DEP_1)
	v_cmp_lt_u32_e64 s3, 31, v19
	s_wait_alu 0xf1ff
	v_cndmask_b32_e64 v28, 0, 0xffffffe0, s3
	s_delay_alu instid0(VALU_DEP_1) | instskip(SKIP_1) | instid1(VALU_DEP_2)
	v_add_nc_u32_e32 v19, v28, v19
	v_mad_co_u64_u32 v[22:23], null, 0x3c439041, v20, v[2:3]
	v_cmp_lt_u32_e64 s4, 31, v19
	s_delay_alu instid0(VALU_DEP_2) | instskip(NEXT) | instid1(VALU_DEP_1)
	v_mov_b32_e32 v2, v23
	v_mad_co_u64_u32 v[23:24], null, 0xdb629599, v20, v[2:3]
	s_delay_alu instid0(VALU_DEP_1) | instskip(NEXT) | instid1(VALU_DEP_2)
	v_mov_b32_e32 v2, v24
	v_cndmask_b32_e32 v18, v23, v18, vcc_lo
	s_delay_alu instid0(VALU_DEP_2) | instskip(NEXT) | instid1(VALU_DEP_1)
	v_mad_co_u64_u32 v[24:25], null, 0xf534ddc0, v20, v[2:3]
	v_mov_b32_e32 v2, v25
	s_delay_alu instid0(VALU_DEP_1) | instskip(NEXT) | instid1(VALU_DEP_1)
	v_mad_co_u64_u32 v[25:26], null, 0xfc2757d1, v20, v[2:3]
	v_mov_b32_e32 v2, v26
	s_delay_alu instid0(VALU_DEP_1) | instskip(NEXT) | instid1(VALU_DEP_1)
	v_mad_co_u64_u32 v[26:27], null, 0x4e441529, v20, v[2:3]
	v_dual_mov_b32 v2, v27 :: v_dual_cndmask_b32 v29, v26, v24
	s_delay_alu instid0(VALU_DEP_1) | instskip(SKIP_2) | instid1(VALU_DEP_1)
	v_mad_co_u64_u32 v[27:28], null, 0xa2f9836e, v20, v[2:3]
	s_wait_alu 0xf1ff
	v_cndmask_b32_e64 v2, 0, 0xffffffe0, s4
	v_dual_cndmask_b32 v27, v27, v25 :: v_dual_add_nc_u32 v2, v2, v19
	s_delay_alu instid0(VALU_DEP_3) | instskip(SKIP_1) | instid1(VALU_DEP_3)
	v_dual_cndmask_b32 v26, v28, v26 :: v_dual_cndmask_b32 v25, v25, v23
	v_cndmask_b32_e32 v19, v24, v22, vcc_lo
	v_cmp_eq_u32_e32 vcc_lo, 0, v2
	s_delay_alu instid0(VALU_DEP_4) | instskip(NEXT) | instid1(VALU_DEP_4)
	v_cndmask_b32_e64 v22, v27, v29, s3
	v_cndmask_b32_e64 v24, v26, v27, s3
	;; [unrolled: 1-line block ×3, first 2 shown]
	v_sub_nc_u32_e32 v27, 32, v2
	v_cndmask_b32_e64 v25, v25, v19, s3
	v_cndmask_b32_e64 v18, v19, v18, s3
	;; [unrolled: 1-line block ×4, first 2 shown]
	s_delay_alu instid0(VALU_DEP_4) | instskip(NEXT) | instid1(VALU_DEP_4)
	v_cndmask_b32_e64 v26, v26, v25, s4
	v_cndmask_b32_e64 v18, v25, v18, s4
	s_delay_alu instid0(VALU_DEP_3) | instskip(NEXT) | instid1(VALU_DEP_3)
	v_alignbit_b32 v28, v24, v22, v27
	v_alignbit_b32 v23, v22, v26, v27
	s_delay_alu instid0(VALU_DEP_3) | instskip(SKIP_1) | instid1(VALU_DEP_2)
	v_alignbit_b32 v25, v26, v18, v27
	s_wait_alu 0xfffd
	v_dual_cndmask_b32 v2, v28, v24 :: v_dual_cndmask_b32 v19, v23, v22
	s_delay_alu instid0(VALU_DEP_2) | instskip(NEXT) | instid1(VALU_DEP_2)
	v_cndmask_b32_e32 v25, v25, v26, vcc_lo
	v_bfe_u32 v22, v2, 29, 1
	s_delay_alu instid0(VALU_DEP_3) | instskip(NEXT) | instid1(VALU_DEP_3)
	v_alignbit_b32 v23, v2, v19, 30
	v_alignbit_b32 v19, v19, v25, 30
	;; [unrolled: 1-line block ×3, first 2 shown]
	s_delay_alu instid0(VALU_DEP_4) | instskip(NEXT) | instid1(VALU_DEP_1)
	v_sub_nc_u32_e32 v24, 0, v22
	v_xor_b32_e32 v23, v23, v24
	s_delay_alu instid0(VALU_DEP_4) | instskip(NEXT) | instid1(VALU_DEP_4)
	v_xor_b32_e32 v19, v19, v24
	v_xor_b32_e32 v18, v18, v24
	s_delay_alu instid0(VALU_DEP_3) | instskip(NEXT) | instid1(VALU_DEP_1)
	v_clz_i32_u32_e32 v26, v23
	v_min_u32_e32 v26, 32, v26
	s_delay_alu instid0(VALU_DEP_1) | instskip(SKIP_3) | instid1(VALU_DEP_4)
	v_sub_nc_u32_e32 v25, 31, v26
	v_lshlrev_b32_e32 v27, 23, v26
	v_lshrrev_b32_e32 v24, 29, v2
	v_lshrrev_b32_e32 v2, 30, v2
	v_alignbit_b32 v23, v23, v19, v25
	v_alignbit_b32 v18, v19, v18, v25
	s_delay_alu instid0(VALU_DEP_4) | instskip(NEXT) | instid1(VALU_DEP_2)
	v_lshlrev_b32_e32 v19, 31, v24
	v_alignbit_b32 v24, v23, v18, 9
	s_delay_alu instid0(VALU_DEP_2) | instskip(SKIP_2) | instid1(VALU_DEP_4)
	v_or_b32_e32 v25, 0.5, v19
	v_lshrrev_b32_e32 v23, 9, v23
	v_or_b32_e32 v19, 0x33000000, v19
	v_clz_i32_u32_e32 v28, v24
	s_delay_alu instid0(VALU_DEP_4) | instskip(NEXT) | instid1(VALU_DEP_2)
	v_sub_nc_u32_e32 v25, v25, v27
	v_min_u32_e32 v27, 32, v28
	s_delay_alu instid0(VALU_DEP_2) | instskip(NEXT) | instid1(VALU_DEP_2)
	v_or_b32_e32 v23, v23, v25
	v_not_b32_e32 v25, v27
	v_add_lshl_u32 v26, v27, v26, 23
	s_delay_alu instid0(VALU_DEP_3) | instskip(NEXT) | instid1(VALU_DEP_3)
	v_mul_f32_e32 v28, 0x3fc90fda, v23
	v_alignbit_b32 v18, v24, v18, v25
	s_delay_alu instid0(VALU_DEP_3) | instskip(NEXT) | instid1(VALU_DEP_2)
	v_sub_nc_u32_e32 v19, v19, v26
	v_lshrrev_b32_e32 v18, 9, v18
	s_delay_alu instid0(VALU_DEP_1) | instskip(SKIP_2) | instid1(VALU_DEP_1)
	v_or_b32_e32 v18, v19, v18
	v_add_nc_u32_e32 v19, v22, v2
	v_fma_f32 v24, 0x3fc90fda, v23, -v28
	v_fmac_f32_e32 v24, 0x33a22168, v23
	s_delay_alu instid0(VALU_DEP_1) | instskip(NEXT) | instid1(VALU_DEP_1)
	v_fmac_f32_e32 v24, 0x3fc90fda, v18
	v_add_f32_e32 v18, v28, v24
.LBB7_20:                               ;   in Loop: Header=BB7_2 Depth=1
	s_or_saveexec_b32 s3, s29
	v_mul_f32_e64 v2, 0x3f22f983, |v15|
	s_delay_alu instid0(VALU_DEP_1)
	v_rndne_f32_e32 v23, v2
	s_wait_alu 0xfffe
	s_xor_b32 exec_lo, exec_lo, s3
; %bb.21:                               ;   in Loop: Header=BB7_2 Depth=1
	s_delay_alu instid0(VALU_DEP_1) | instskip(SKIP_1) | instid1(VALU_DEP_2)
	v_fma_f32 v18, 0xbfc90fda, v23, |v15|
	v_cvt_i32_f32_e32 v19, v23
	v_fmac_f32_e32 v18, 0xb3a22168, v23
	s_delay_alu instid0(VALU_DEP_1)
	v_fmac_f32_e32 v18, 0xa7c234c4, v23
; %bb.22:                               ;   in Loop: Header=BB7_2 Depth=1
	s_or_b32 exec_lo, exec_lo, s3
                                        ; implicit-def: $vgpr22
                                        ; implicit-def: $vgpr2
	s_and_saveexec_b32 s3, s28
	s_wait_alu 0xfffe
	s_xor_b32 s28, exec_lo, s3
	s_cbranch_execz .LBB7_24
; %bb.23:                               ;   in Loop: Header=BB7_2 Depth=1
	v_mad_co_u64_u32 v[22:23], null, 0xfe5163ab, v20, 0
	v_cmp_lt_u32_e32 vcc_lo, 63, v21
	s_wait_alu 0xfffd
	v_cndmask_b32_e64 v28, 0, 0xffffffc0, vcc_lo
	s_delay_alu instid0(VALU_DEP_1) | instskip(NEXT) | instid1(VALU_DEP_1)
	v_dual_mov_b32 v2, v23 :: v_dual_add_nc_u32 v21, v28, v21
	v_mad_co_u64_u32 v[23:24], null, 0x3c439041, v20, v[2:3]
	s_delay_alu instid0(VALU_DEP_2) | instskip(NEXT) | instid1(VALU_DEP_2)
	v_cmp_lt_u32_e64 s3, 31, v21
	v_mov_b32_e32 v2, v24
	s_wait_alu 0xf1ff
	s_delay_alu instid0(VALU_DEP_2) | instskip(NEXT) | instid1(VALU_DEP_2)
	v_cndmask_b32_e64 v29, 0, 0xffffffe0, s3
	v_mad_co_u64_u32 v[24:25], null, 0xdb629599, v20, v[2:3]
	s_delay_alu instid0(VALU_DEP_1) | instskip(NEXT) | instid1(VALU_DEP_2)
	v_mov_b32_e32 v2, v25
	v_cndmask_b32_e32 v22, v24, v22, vcc_lo
	s_delay_alu instid0(VALU_DEP_2) | instskip(NEXT) | instid1(VALU_DEP_1)
	v_mad_co_u64_u32 v[25:26], null, 0xf534ddc0, v20, v[2:3]
	v_dual_mov_b32 v2, v26 :: v_dual_cndmask_b32 v23, v25, v23
	s_delay_alu instid0(VALU_DEP_1) | instskip(NEXT) | instid1(VALU_DEP_1)
	v_mad_co_u64_u32 v[26:27], null, 0xfc2757d1, v20, v[2:3]
	v_mov_b32_e32 v2, v27
	s_delay_alu instid0(VALU_DEP_1) | instskip(NEXT) | instid1(VALU_DEP_1)
	v_mad_co_u64_u32 v[27:28], null, 0x4e441529, v20, v[2:3]
	v_mov_b32_e32 v2, v28
	v_add_nc_u32_e32 v28, v29, v21
	s_delay_alu instid0(VALU_DEP_3) | instskip(NEXT) | instid1(VALU_DEP_3)
	v_cndmask_b32_e32 v29, v27, v25, vcc_lo
	v_mad_co_u64_u32 v[20:21], null, 0xa2f9836e, v20, v[2:3]
	s_delay_alu instid0(VALU_DEP_3) | instskip(SKIP_1) | instid1(VALU_DEP_1)
	v_cmp_lt_u32_e64 s4, 31, v28
	s_wait_alu 0xf1ff
	v_cndmask_b32_e64 v2, 0, 0xffffffe0, s4
	s_delay_alu instid0(VALU_DEP_3) | instskip(SKIP_1) | instid1(VALU_DEP_3)
	v_dual_cndmask_b32 v20, v20, v26 :: v_dual_cndmask_b32 v21, v21, v27
	v_cndmask_b32_e32 v26, v26, v24, vcc_lo
	v_add_nc_u32_e32 v2, v2, v28
	s_delay_alu instid0(VALU_DEP_3) | instskip(NEXT) | instid1(VALU_DEP_4)
	v_cndmask_b32_e64 v25, v20, v29, s3
	v_cndmask_b32_e64 v20, v21, v20, s3
	s_delay_alu instid0(VALU_DEP_4)
	v_cndmask_b32_e64 v21, v29, v26, s3
	v_cndmask_b32_e64 v26, v26, v23, s3
	v_sub_nc_u32_e32 v27, 32, v2
	v_cmp_eq_u32_e32 vcc_lo, 0, v2
	v_cndmask_b32_e64 v20, v20, v25, s4
	v_cndmask_b32_e64 v25, v25, v21, s4
	;; [unrolled: 1-line block ×3, first 2 shown]
	s_delay_alu instid0(VALU_DEP_2) | instskip(NEXT) | instid1(VALU_DEP_2)
	v_alignbit_b32 v28, v20, v25, v27
	v_alignbit_b32 v24, v25, v21, v27
	s_wait_alu 0xfffd
	s_delay_alu instid0(VALU_DEP_2) | instskip(SKIP_1) | instid1(VALU_DEP_3)
	v_cndmask_b32_e32 v2, v28, v20, vcc_lo
	v_cndmask_b32_e64 v20, v23, v22, s3
	v_cndmask_b32_e32 v22, v24, v25, vcc_lo
	s_delay_alu instid0(VALU_DEP_3) | instskip(NEXT) | instid1(VALU_DEP_3)
	v_bfe_u32 v23, v2, 29, 1
	v_cndmask_b32_e64 v20, v26, v20, s4
	s_delay_alu instid0(VALU_DEP_3) | instskip(NEXT) | instid1(VALU_DEP_3)
	v_alignbit_b32 v24, v2, v22, 30
	v_sub_nc_u32_e32 v25, 0, v23
	s_delay_alu instid0(VALU_DEP_3) | instskip(NEXT) | instid1(VALU_DEP_2)
	v_alignbit_b32 v26, v21, v20, v27
	v_xor_b32_e32 v24, v24, v25
	s_delay_alu instid0(VALU_DEP_2) | instskip(NEXT) | instid1(VALU_DEP_2)
	v_cndmask_b32_e32 v21, v26, v21, vcc_lo
	v_clz_i32_u32_e32 v26, v24
	s_delay_alu instid0(VALU_DEP_2) | instskip(SKIP_1) | instid1(VALU_DEP_3)
	v_alignbit_b32 v22, v22, v21, 30
	v_alignbit_b32 v20, v21, v20, 30
	v_min_u32_e32 v26, 32, v26
	s_delay_alu instid0(VALU_DEP_3) | instskip(NEXT) | instid1(VALU_DEP_3)
	v_xor_b32_e32 v21, v22, v25
	v_xor_b32_e32 v20, v20, v25
	s_delay_alu instid0(VALU_DEP_3) | instskip(SKIP_2) | instid1(VALU_DEP_3)
	v_sub_nc_u32_e32 v22, 31, v26
	v_lshlrev_b32_e32 v27, 23, v26
	v_lshrrev_b32_e32 v25, 29, v2
	v_alignbit_b32 v24, v24, v21, v22
	v_alignbit_b32 v20, v21, v20, v22
	s_delay_alu instid0(VALU_DEP_3) | instskip(NEXT) | instid1(VALU_DEP_2)
	v_lshlrev_b32_e32 v21, 31, v25
	v_alignbit_b32 v22, v24, v20, 9
	s_delay_alu instid0(VALU_DEP_2) | instskip(SKIP_2) | instid1(VALU_DEP_4)
	v_or_b32_e32 v25, 0.5, v21
	v_lshrrev_b32_e32 v24, 9, v24
	v_or_b32_e32 v21, 0x33000000, v21
	v_clz_i32_u32_e32 v28, v22
	s_delay_alu instid0(VALU_DEP_4) | instskip(NEXT) | instid1(VALU_DEP_2)
	v_sub_nc_u32_e32 v25, v25, v27
	v_min_u32_e32 v27, 32, v28
	s_delay_alu instid0(VALU_DEP_2) | instskip(NEXT) | instid1(VALU_DEP_2)
	v_or_b32_e32 v24, v24, v25
	v_not_b32_e32 v25, v27
	s_delay_alu instid0(VALU_DEP_2) | instskip(SKIP_1) | instid1(VALU_DEP_3)
	v_mul_f32_e32 v28, 0x3fc90fda, v24
	v_add_lshl_u32 v26, v27, v26, 23
	v_alignbit_b32 v20, v22, v20, v25
	s_delay_alu instid0(VALU_DEP_3) | instskip(NEXT) | instid1(VALU_DEP_3)
	v_fma_f32 v22, 0x3fc90fda, v24, -v28
	v_sub_nc_u32_e32 v21, v21, v26
	s_delay_alu instid0(VALU_DEP_3) | instskip(NEXT) | instid1(VALU_DEP_3)
	v_lshrrev_b32_e32 v20, 9, v20
	v_fmac_f32_e32 v22, 0x33a22168, v24
	s_delay_alu instid0(VALU_DEP_2) | instskip(NEXT) | instid1(VALU_DEP_1)
	v_or_b32_e32 v20, v21, v20
	v_fmac_f32_e32 v22, 0x3fc90fda, v20
	v_lshrrev_b32_e32 v20, 30, v2
	s_delay_alu instid0(VALU_DEP_2) | instskip(NEXT) | instid1(VALU_DEP_2)
	v_add_f32_e32 v2, v28, v22
	v_add_nc_u32_e32 v22, v23, v20
                                        ; implicit-def: $vgpr23
	s_and_not1_saveexec_b32 s3, s28
	s_cbranch_execz .LBB7_1
	s_branch .LBB7_25
.LBB7_24:                               ;   in Loop: Header=BB7_2 Depth=1
	s_and_not1_saveexec_b32 s3, s28
	s_cbranch_execz .LBB7_1
.LBB7_25:                               ;   in Loop: Header=BB7_2 Depth=1
	v_fma_f32 v2, 0xbfc90fda, v23, |v15|
	v_cvt_i32_f32_e32 v22, v23
	s_delay_alu instid0(VALU_DEP_2) | instskip(NEXT) | instid1(VALU_DEP_1)
	v_fmac_f32_e32 v2, 0xb3a22168, v23
	v_fmac_f32_e32 v2, 0xa7c234c4, v23
	s_branch .LBB7_1
.LBB7_26:
	s_clause 0x1
	s_load_b64 s[4:5], s[0:1], 0x0
	s_load_b128 s[12:15], s[0:1], 0x48
	v_mov_b32_e32 v4, 0
	s_mov_b32 s17, 0
	s_movk_i32 s20, 0x1a2c
	s_or_b32 s21, 0, 8
	s_wait_alu 0xfffe
	s_mov_b32 s18, s17
	s_wait_kmcnt 0x0
	s_max_i32 s22, s5, 1
	s_max_i32 s23, s4, 1
.LBB7_27:                               ; =>This Loop Header: Depth=1
                                        ;     Child Loop BB7_28 Depth 2
                                        ;     Child Loop BB7_30 Depth 2
                                        ;       Child Loop BB7_31 Depth 3
	s_mov_b32 s19, s17
	s_mov_b32 s3, s17
	s_wait_alu 0xfffe
	s_lshl_b64 s[0:1], s[18:19], 4
	s_wait_alu 0xfffe
	s_add_nc_u64 s[0:1], s[10:11], s[0:1]
	global_load_b128 v[0:3], v4, s[0:1]
	s_mov_b32 s1, s20
	s_wait_loadcnt 0x0
	v_ashrrev_i32_e32 v6, 31, v3
	v_mov_b32_e32 v5, v3
	s_delay_alu instid0(VALU_DEP_1) | instskip(NEXT) | instid1(VALU_DEP_1)
	v_lshlrev_b64_e32 v[5:6], 4, v[5:6]
	v_add_co_u32 v5, vcc_lo, s14, v5
	s_wait_alu 0xfffd
	s_delay_alu instid0(VALU_DEP_2)
	v_add_co_ci_u32_e64 v6, null, s15, v6, vcc_lo
	global_load_b128 v[5:8], v[5:6], off
	s_wait_loadcnt 0x0
	v_readfirstlane_b32 s0, v5
	v_readfirstlane_b32 s19, v6
	;; [unrolled: 1-line block ×4, first 2 shown]
.LBB7_28:                               ;   Parent Loop BB7_27 Depth=1
                                        ; =>  This Inner Loop Header: Depth=2
	s_add_co_i32 s4, s3, 0x200
	s_addk_co_i32 s3, 0xc0
	s_clause 0xb
	scratch_load_b128 v[5:8], off, s4
	scratch_load_b128 v[9:12], off, s4 offset:16
	scratch_load_b128 v[13:16], off, s4 offset:32
	;; [unrolled: 1-line block ×11, first 2 shown]
	s_wait_loadcnt 0xb
	v_fma_f32 v55, v0, v5, v8
	s_wait_loadcnt 0xa
	v_fma_f32 v56, v0, v9, v12
	s_wait_loadcnt 0x9
	v_fma_f32 v57, v0, v13, v16
	s_wait_loadcnt 0x8
	v_fma_f32 v58, v0, v17, v20
	s_wait_loadcnt 0x7
	v_fma_f32 v59, v0, v21, v24
	s_wait_loadcnt 0x6
	v_fma_f32 v60, v0, v25, v28
	s_wait_loadcnt 0x5
	v_fma_f32 v61, v0, v29, v32
	s_wait_loadcnt 0x4
	v_fma_f32 v62, v0, v33, v36
	s_wait_loadcnt 0x3
	v_fma_f32 v63, v0, v37, v40
	s_wait_loadcnt 0x2
	v_fma_f32 v64, v0, v41, v44
	s_wait_loadcnt 0x1
	v_fma_f32 v65, v0, v47, v50
	s_wait_loadcnt 0x0
	v_fma_f32 v66, v0, v51, v54
	v_fmac_f32_e32 v56, v1, v10
	v_fmac_f32_e32 v55, v1, v6
	;; [unrolled: 1-line block ×11, first 2 shown]
	v_dual_fmac_f32 v65, v1, v48 :: v_dual_fmac_f32 v56, v2, v11
	v_fmac_f32_e32 v55, v2, v7
	v_fmac_f32_e32 v58, v2, v19
	;; [unrolled: 1-line block ×11, first 2 shown]
	s_clause 0x2
	scratch_store_b128 off, v[55:58], s1 offset:-44
	scratch_store_b128 off, v[59:62], s1 offset:-28
	;; [unrolled: 1-line block ×3, first 2 shown]
	s_wait_alu 0xfffe
	s_add_co_i32 s1, s1, 48
	s_cmp_eq_u32 s3, 0x1800
	s_cbranch_scc0 .LBB7_28
; %bb.29:                               ;   in Loop: Header=BB7_27 Depth=1
	s_cmp_gt_f32 s25, 0
	s_mov_b32 s16, 0
	s_cselect_b32 s27, -1, 0
	s_cmp_eq_u32 s0, 0x46
	s_cselect_b32 s28, -1, 0
	s_cmp_eq_u32 s0, 0x45
	s_cselect_b32 s29, -1, 0
	s_cmp_lt_f32 s25, 0
	s_cselect_b32 s30, -1, 0
	s_delay_alu instid0(SALU_CYCLE_1)
	s_and_b32 s0, s30, exec_lo
	s_cselect_b32 s31, 0x40b00000, 1.0
	s_cselect_b32 s33, 1.0, 0xff7fffff
	s_xor_b32 s34, s25, 0x80000000
.LBB7_30:                               ;   Parent Loop BB7_27 Depth=1
                                        ; =>  This Loop Header: Depth=2
                                        ;       Child Loop BB7_31 Depth 3
	s_wait_alu 0xfffe
	s_lshl_b64 s[0:1], s[16:17], 4
	s_mov_b32 s41, s21
	s_wait_alu 0xfffe
	s_add_nc_u64 s[0:1], s[8:9], s[0:1]
	s_mov_b32 s42, 0
	global_load_b128 v[0:3], v4, s[0:1]
	s_wait_loadcnt 0x0
	v_ashrrev_i32_e32 v6, 31, v3
	v_mov_b32_e32 v5, v3
	s_delay_alu instid0(VALU_DEP_1) | instskip(NEXT) | instid1(VALU_DEP_1)
	v_lshlrev_b64_e32 v[5:6], 4, v[5:6]
	v_add_co_u32 v5, vcc_lo, s14, v5
	s_wait_alu 0xfffd
	s_delay_alu instid0(VALU_DEP_2)
	v_add_co_ci_u32_e64 v6, null, s15, v6, vcc_lo
	global_load_b128 v[5:8], v[5:6], off
	s_wait_loadcnt 0x0
	v_readfirstlane_b32 s0, v5
	v_readfirstlane_b32 s3, v7
	v_add_f32_e32 v3, s19, v6
	s_wait_alu 0xfffe
	s_cmp_eq_u32 s0, 0x46
	s_cselect_b32 s1, -1, 0
	s_delay_alu instid0(VALU_DEP_1)
	v_div_scale_f32 v5, null, v3, v3, 1.0
	s_wait_alu 0xfffe
	s_and_b32 s1, s1, s28
	v_div_scale_f32 v12, vcc_lo, 1.0, v3, 1.0
	s_wait_alu 0xfffe
	s_and_b32 s1, s1, exec_lo
	s_cselect_b32 s35, 4.0, 2.0
	s_cselect_b32 s36, 0x3e800000, 0.5
	s_cmp_eq_u32 s0, 0x45
	v_rcp_f32_e32 v7, v5
	s_cselect_b32 s0, -1, 0
	v_xor_b32_e32 v5, 0x80000000, v5
	s_wait_alu 0xfffe
	s_or_b32 s37, s0, s29
	s_cmp_gt_f32 s3, 0
	s_cselect_b32 s1, -1, 0
	s_cmp_neq_f32 s3, 0
	s_delay_alu instid0(TRANS32_DEP_1) | instskip(SKIP_2) | instid1(VALU_DEP_1)
	v_fma_f32 v10, v5, v7, 1.0
	s_cselect_b32 s38, -1, 0
	s_cmp_lt_f32 s3, 0
	v_fmac_f32_e32 v7, v10, v7
	s_cselect_b32 s4, -1, 0
	s_wait_alu 0xfffe
	s_and_b32 s0, s4, exec_lo
	s_cselect_b32 s39, s31, s33
	s_and_b32 s4, s4, s27
	s_wait_alu 0xfffe
	v_div_scale_f32 v6, null, s39, s39, 1.0
	v_div_scale_f32 v10, s0, 1.0, s39, 1.0
	s_xor_b32 s5, s3, 0x80000000
	v_rcp_f32_e32 v9, v6
	v_xor_b32_e32 v6, 0x80000000, v6
	s_and_b32 s4, s4, exec_lo
	s_wait_alu 0xfffe
	s_cselect_b32 s3, s5, s3
	s_and_b32 s1, s1, s30
	s_delay_alu instid0(TRANS32_DEP_1) | instskip(NEXT) | instid1(VALU_DEP_1)
	v_fma_f32 v11, v6, v9, 1.0
	v_fmac_f32_e32 v9, v11, v9
	v_mul_f32_e32 v11, v12, v7
	s_delay_alu instid0(VALU_DEP_2) | instskip(NEXT) | instid1(VALU_DEP_2)
	v_mul_f32_e32 v13, v10, v9
	v_fma_f32 v14, v5, v11, v12
	s_delay_alu instid0(VALU_DEP_2) | instskip(NEXT) | instid1(VALU_DEP_2)
	v_fma_f32 v15, v6, v13, v10
	v_fmac_f32_e32 v11, v14, v7
	s_delay_alu instid0(VALU_DEP_1) | instskip(NEXT) | instid1(VALU_DEP_1)
	v_dual_fmac_f32 v13, v15, v9 :: v_dual_fmac_f32 v12, v5, v11
	v_fmac_f32_e32 v10, v6, v13
	s_wait_alu 0xfffd
	s_delay_alu instid0(VALU_DEP_2)
	v_div_fmas_f32 v5, v12, v7, v11
	s_mov_b32 vcc_lo, s0
	s_wait_alu 0xfffe
	s_and_b32 s0, s1, exec_lo
	s_cselect_b32 s0, s34, s25
	v_div_fmas_f32 v6, v10, v9, v13
	v_div_fixup_f32 v5, v5, v3, 1.0
	v_mul_f32_e32 v7, s26, v8
	s_wait_alu 0xfffe
	s_add_f32 s40, s3, s0
	v_div_fixup_f32 v6, v6, s39, 1.0
.LBB7_31:                               ;   Parent Loop BB7_27 Depth=1
                                        ;     Parent Loop BB7_30 Depth=2
                                        ; =>    This Inner Loop Header: Depth=3
	s_add_co_i32 s0, s42, 0x1a00
	s_add_co_i32 s42, s42, 48
	s_clause 0x2
	scratch_load_b128 v[8:11], off, s0
	scratch_load_b128 v[12:15], off, s0 offset:16
	scratch_load_b128 v[16:19], off, s0 offset:32
	scratch_load_b128 v[20:23], off, s41 offset:-8
	s_wait_loadcnt 0x3
	v_dual_sub_f32 v8, v8, v0 :: v_dual_sub_f32 v9, v9, v1
	s_wait_loadcnt 0x2
	v_dual_sub_f32 v12, v12, v1 :: v_dual_sub_f32 v13, v13, v2
	v_dual_sub_f32 v14, v14, v0 :: v_dual_sub_f32 v15, v15, v1
	s_wait_loadcnt 0x1
	v_dual_sub_f32 v18, v18, v1 :: v_dual_sub_f32 v19, v19, v2
	v_dual_sub_f32 v10, v10, v2 :: v_dual_sub_f32 v11, v11, v0
	;; [unrolled: 1-line block ×3, first 2 shown]
	v_dual_mul_f32 v9, v9, v9 :: v_dual_mul_f32 v12, v12, v12
	s_delay_alu instid0(VALU_DEP_4) | instskip(NEXT) | instid1(VALU_DEP_2)
	v_dual_mul_f32 v15, v15, v15 :: v_dual_mul_f32 v18, v18, v18
	v_dual_fmac_f32 v9, v8, v8 :: v_dual_fmac_f32 v12, v11, v11
	s_delay_alu instid0(VALU_DEP_2) | instskip(NEXT) | instid1(VALU_DEP_2)
	v_dual_fmac_f32 v15, v14, v14 :: v_dual_fmac_f32 v18, v17, v17
	v_dual_fmac_f32 v9, v10, v10 :: v_dual_fmac_f32 v12, v13, v13
	s_delay_alu instid0(VALU_DEP_2) | instskip(NEXT) | instid1(VALU_DEP_2)
	v_dual_fmac_f32 v15, v16, v16 :: v_dual_fmac_f32 v18, v19, v19
	v_mul_f32_e32 v8, 0x4f800000, v9
	s_delay_alu instid0(VALU_DEP_3) | instskip(SKIP_1) | instid1(VALU_DEP_4)
	v_mul_f32_e32 v10, 0x4f800000, v12
	v_cmp_gt_f32_e32 vcc_lo, 0xf800000, v12
	v_mul_f32_e32 v11, 0x4f800000, v15
	v_cmp_gt_f32_e64 s0, 0xf800000, v15
	v_mul_f32_e32 v13, 0x4f800000, v18
	v_cmp_gt_f32_e64 s1, 0xf800000, v18
	v_cmp_gt_f32_e64 s3, 0xf800000, v9
	s_wait_alu 0xf1ff
	s_delay_alu instid0(VALU_DEP_1)
	v_cndmask_b32_e64 v8, v9, v8, s3
	s_wait_alu 0xfffd
	v_cndmask_b32_e32 v9, v12, v10, vcc_lo
	s_wait_alu 0xfffe
	v_cndmask_b32_e64 v10, v15, v11, s0
	v_cndmask_b32_e64 v11, v18, v13, s1
	v_sqrt_f32_e32 v12, v8
	s_delay_alu instid0(VALU_DEP_2) | instskip(NEXT) | instid1(VALU_DEP_1)
	v_sqrt_f32_e32 v14, v10
	v_sqrt_f32_e32 v15, v11
	s_delay_alu instid0(TRANS32_DEP_3) | instskip(SKIP_1) | instid1(TRANS32_DEP_3)
	v_add_nc_u32_e32 v16, -1, v12
	v_sqrt_f32_e32 v13, v9
	v_add_nc_u32_e32 v24, -1, v14
	s_delay_alu instid0(TRANS32_DEP_2)
	v_add_nc_u32_e32 v26, -1, v15
	v_add_nc_u32_e32 v25, 1, v14
	v_add_nc_u32_e32 v27, 1, v15
	v_fma_f32 v28, -v16, v12, v8
	v_fma_f32 v32, -v24, v14, v10
	;; [unrolled: 1-line block ×5, first 2 shown]
	v_add_nc_u32_e32 v19, 1, v13
	v_cmp_ge_f32_e64 s5, 0, v32
	v_cmp_ge_f32_e64 s6, 0, v34
	;; [unrolled: 1-line block ×3, first 2 shown]
	s_delay_alu instid0(VALU_DEP_4)
	v_fma_f32 v31, -v19, v13, v9
	s_wait_alu 0xf1ff
	v_cndmask_b32_e64 v14, v14, v24, s5
	v_cmp_lt_f32_e64 s5, 0, v33
	v_cndmask_b32_e64 v15, v15, v26, s6
	v_cmp_lt_f32_e64 s6, 0, v35
	s_wait_alu 0xf1ff
	s_delay_alu instid0(VALU_DEP_3) | instskip(SKIP_1) | instid1(VALU_DEP_3)
	v_cndmask_b32_e64 v14, v14, v25, s5
	v_add_nc_u32_e32 v17, 1, v12
	v_cndmask_b32_e64 v15, v15, v27, s6
	v_add_nc_u32_e32 v18, -1, v13
	s_delay_alu instid0(VALU_DEP_3) | instskip(SKIP_1) | instid1(VALU_DEP_3)
	v_fma_f32 v29, -v17, v12, v8
	v_cndmask_b32_e64 v12, v12, v16, s4
	v_fma_f32 v30, -v18, v13, v9
	s_delay_alu instid0(VALU_DEP_3) | instskip(NEXT) | instid1(VALU_DEP_2)
	v_cmp_lt_f32_e64 s7, 0, v29
	v_cmp_ge_f32_e64 s4, 0, v30
	s_wait_alu 0xf1ff
	s_delay_alu instid0(VALU_DEP_1) | instskip(SKIP_3) | instid1(VALU_DEP_2)
	v_cndmask_b32_e64 v13, v13, v18, s4
	v_cmp_lt_f32_e64 s4, 0, v31
	v_mul_f32_e32 v18, 0x37800000, v14
	v_cndmask_b32_e64 v12, v12, v17, s7
	v_cndmask_b32_e64 v14, v14, v18, s0
	s_delay_alu instid0(VALU_DEP_2)
	v_mul_f32_e32 v16, 0x37800000, v12
	s_wait_alu 0xf1ff
	v_cndmask_b32_e64 v13, v13, v19, s4
	v_cmp_class_f32_e64 s0, v10, 0x260
	v_mul_f32_e32 v19, 0x37800000, v15
	v_cndmask_b32_e64 v12, v12, v16, s3
	s_delay_alu instid0(VALU_DEP_4)
	v_mul_f32_e32 v17, 0x37800000, v13
	v_cmp_class_f32_e64 s3, v8, 0x260
	s_wait_alu 0xf1ff
	v_cndmask_b32_e64 v10, v14, v10, s0
	v_cndmask_b32_e64 v15, v15, v19, s1
	v_cmp_class_f32_e64 s1, v11, 0x260
	v_cndmask_b32_e32 v13, v13, v17, vcc_lo
	v_cmp_class_f32_e64 vcc_lo, v9, 0x260
	v_cndmask_b32_e64 v8, v12, v8, s3
	v_sub_f32_e32 v14, v10, v3
	s_wait_alu 0xf1ff
	v_cndmask_b32_e64 v11, v15, v11, s1
	v_fma_f32 v10, -v5, v10, 1.0
	s_wait_alu 0xfffd
	v_dual_cndmask_b32 v9, v13, v9 :: v_dual_sub_f32 v12, v8, v3
	v_cmp_gt_f32_e64 s5, s35, v14
	v_fma_f32 v8, -v5, v8, 1.0
	v_cmp_gt_f32_e64 s4, 0, v14
	s_delay_alu instid0(VALU_DEP_4)
	v_sub_f32_e32 v13, v9, v3
	v_cmp_gt_f32_e64 s0, s35, v12
	s_wait_alu 0xf1ff
	v_cndmask_b32_e64 v28, 0, 1.0, s5
	v_sub_f32_e32 v15, v11, v3
	v_fma_f32 v9, -v5, v9, 1.0
	v_cmp_gt_f32_e64 s3, s35, v13
	v_cmp_gt_f32_e64 s1, 0, v13
	v_cndmask_b32_e64 v18, 0, 1.0, s0
	v_cmp_gt_f32_e64 s0, s39, v12
	v_cmp_gt_f32_e64 s7, s35, v15
	s_wait_alu 0xf1ff
	v_cndmask_b32_e64 v25, 0, 1.0, s3
	v_cmp_gt_f32_e64 s3, s39, v13
	v_cmp_gt_f32_e32 vcc_lo, 0, v12
	v_fma_f32 v17, -s36, v12, 1.0
	v_fma_f32 v19, -v6, v12, 1.0
	v_cndmask_b32_e64 v12, 0, 0x42980000, s1
	s_and_b32 s0, s38, s0
	v_cmp_gt_f32_e64 s6, 0, v15
	v_fma_f32 v30, -s36, v15, 1.0
	v_cndmask_b32_e64 v31, 0, 1.0, s7
	v_fma_f32 v32, -v6, v15, 1.0
	v_cmp_gt_f32_e64 s7, s39, v15
	s_wait_alu 0xfffe
	v_cndmask_b32_e64 v15, 0, 1.0, s0
	s_and_b32 s0, s38, s3
	s_wait_alu 0xfffd
	v_cndmask_b32_e64 v16, 0, 0x42980000, vcc_lo
	s_wait_loadcnt 0x0
	v_fma_f32 v21, v9, v12, v21
	s_wait_alu 0xfffe
	v_cndmask_b32_e64 v12, 0, 1.0, s0
	v_fma_f32 v27, -s36, v14, 1.0
	v_cmp_gt_f32_e64 s5, s39, v14
	v_fma_f32 v20, v8, v16, v20
	v_cndmask_b32_e64 v8, v17, 1.0, vcc_lo
	v_mul_f32_e32 v12, s40, v12
	v_fma_f32 v24, -s36, v13, 1.0
	v_fma_f32 v26, -v6, v13, 1.0
	v_cndmask_b32_e64 v13, 0, 0x42980000, s4
	v_mul_f32_e32 v8, v18, v8
	s_and_b32 s0, s38, s5
	v_cndmask_b32_e64 v9, v24, 1.0, s1
	v_fma_f32 v11, -v5, v11, 1.0
	v_fma_f32 v22, v10, v13, v22
	v_cndmask_b32_e64 v10, v27, 1.0, s4
	v_fma_f32 v29, -v6, v14, 1.0
	v_cndmask_b32_e64 v14, 0, 0x42980000, s6
	s_wait_alu 0xfffe
	v_cndmask_b32_e64 v13, 0, 1.0, s0
	v_dual_mul_f32 v9, v25, v9 :: v_dual_mul_f32 v8, v7, v8
	v_mul_f32_e32 v10, v28, v10
	s_and_b32 s0, s38, s7
	s_delay_alu instid0(VALU_DEP_3)
	v_mul_f32_e32 v13, s40, v13
	v_cndmask_b32_e64 v16, v19, 1.0, vcc_lo
	v_cndmask_b32_e64 v8, v8, -|v8|, s37
	v_fmac_f32_e32 v23, v11, v14
	v_cndmask_b32_e64 v11, v30, 1.0, s6
	v_mul_f32_e32 v10, v7, v10
	s_wait_alu 0xfffe
	v_cndmask_b32_e64 v14, 0, 1.0, s0
	v_dual_mul_f32 v15, s40, v15 :: v_dual_fmac_f32 v20, 0x42340000, v8
	v_cndmask_b32_e64 v17, v26, 1.0, s1
	v_cndmask_b32_e64 v10, v10, -|v10|, s37
	s_delay_alu instid0(VALU_DEP_4) | instskip(NEXT) | instid1(VALU_DEP_4)
	v_dual_mul_f32 v11, v31, v11 :: v_dual_mul_f32 v14, s40, v14
	v_dual_mul_f32 v9, v7, v9 :: v_dual_fmac_f32 v20, v16, v15
	s_delay_alu instid0(VALU_DEP_2) | instskip(SKIP_1) | instid1(VALU_DEP_3)
	v_dual_fmac_f32 v22, 0x42340000, v10 :: v_dual_mul_f32 v11, v7, v11
	v_cndmask_b32_e64 v19, v29, 1.0, s4
	v_cndmask_b32_e64 v9, v9, -|v9|, s37
	v_cndmask_b32_e64 v24, v32, 1.0, s6
	s_delay_alu instid0(VALU_DEP_4) | instskip(NEXT) | instid1(VALU_DEP_4)
	v_cndmask_b32_e64 v11, v11, -|v11|, s37
	v_fmac_f32_e32 v22, v19, v13
	s_delay_alu instid0(VALU_DEP_4) | instskip(NEXT) | instid1(VALU_DEP_3)
	v_fmac_f32_e32 v21, 0x42340000, v9
	v_fmac_f32_e32 v23, 0x42340000, v11
	s_delay_alu instid0(VALU_DEP_2) | instskip(NEXT) | instid1(VALU_DEP_2)
	v_fmac_f32_e32 v21, v17, v12
	v_fmac_f32_e32 v23, v24, v14
	scratch_store_b128 off, v[20:23], s41 offset:-8
	s_add_co_i32 s41, s41, 16
	s_cmp_eq_u32 s42, 0x600
	s_cbranch_scc0 .LBB7_31
; %bb.32:                               ;   in Loop: Header=BB7_30 Depth=2
	s_add_co_i32 s16, s16, 1
	s_wait_alu 0xfffe
	s_cmp_eq_u32 s16, s22
	s_cbranch_scc0 .LBB7_30
; %bb.33:                               ;   in Loop: Header=BB7_27 Depth=1
	s_add_co_i32 s18, s18, 1
	s_wait_alu 0xfffe
	s_cmp_lg_u32 s18, s23
	s_cbranch_scc1 .LBB7_27
; %bb.34:
	s_and_saveexec_b32 s0, s2
	s_cbranch_execz .LBB7_36
; %bb.35:
	s_clause 0x8
	scratch_load_b128 v[0:3], off, off
	scratch_load_b128 v[8:11], off, off offset:16
	scratch_load_b128 v[12:15], off, off offset:32
	;; [unrolled: 1-line block ×8, first 2 shown]
	v_mov_b32_e32 v47, 0
	scratch_load_b128 v[4:7], off, off offset:144
	v_lshlrev_b64_e32 v[16:17], 2, v[46:47]
	v_add_nc_u32_e32 v46, s24, v46
	s_delay_alu instid0(VALU_DEP_1) | instskip(SKIP_1) | instid1(VALU_DEP_4)
	v_lshlrev_b64_e32 v[42:43], 2, v[46:47]
	v_add_nc_u32_e32 v46, s24, v46
	v_add_co_u32 v44, vcc_lo, s12, v16
	s_wait_alu 0xfffd
	v_add_co_ci_u32_e64 v45, null, s13, v17, vcc_lo
	s_delay_alu instid0(VALU_DEP_4)
	v_add_co_u32 v42, vcc_lo, s12, v42
	s_wait_alu 0xfffd
	v_add_co_ci_u32_e64 v43, null, s13, v43, vcc_lo
	s_wait_loadcnt 0x9
	v_mul_f32_e32 v55, 0.5, v1
	v_lshlrev_b64_e32 v[16:17], 2, v[46:47]
	v_dual_mul_f32 v111, 0.5, v3 :: v_dual_add_nc_u32 v46, s24, v46
	s_wait_loadcnt 0x4
	v_dual_mul_f32 v54, 0.5, v0 :: v_dual_mul_f32 v1, 0.5, v26
	v_mul_f32_e32 v113, 0.5, v9
	s_delay_alu instid0(VALU_DEP_3) | instskip(SKIP_4) | instid1(VALU_DEP_3)
	v_lshlrev_b64_e32 v[48:49], 2, v[46:47]
	v_add_nc_u32_e32 v46, s24, v46
	v_add_co_u32 v60, vcc_lo, s12, v16
	s_wait_alu 0xfffd
	v_add_co_ci_u32_e64 v61, null, s13, v17, vcc_lo
	v_lshlrev_b64_e32 v[16:17], 2, v[46:47]
	v_dual_mul_f32 v115, 0.5, v11 :: v_dual_add_nc_u32 v46, s24, v46
	v_add_co_u32 v62, vcc_lo, s12, v48
	s_wait_alu 0xfffd
	v_add_co_ci_u32_e64 v63, null, s13, v49, vcc_lo
	s_delay_alu instid0(VALU_DEP_3) | instskip(SKIP_4) | instid1(VALU_DEP_3)
	v_lshlrev_b64_e32 v[48:49], 2, v[46:47]
	v_dual_mul_f32 v117, 0.5, v13 :: v_dual_add_nc_u32 v46, s24, v46
	v_add_co_u32 v70, vcc_lo, s12, v16
	s_wait_alu 0xfffd
	v_add_co_ci_u32_e64 v71, null, s13, v17, vcc_lo
	v_lshlrev_b64_e32 v[16:17], 2, v[46:47]
	v_dual_mul_f32 v119, 0.5, v15 :: v_dual_add_nc_u32 v46, s24, v46
	v_add_co_u32 v72, vcc_lo, s12, v48
	s_wait_alu 0xfffd
	v_add_co_ci_u32_e64 v73, null, s13, v49, vcc_lo
	s_delay_alu instid0(VALU_DEP_3) | instskip(SKIP_4) | instid1(VALU_DEP_3)
	v_lshlrev_b64_e32 v[48:49], 2, v[46:47]
	v_dual_mul_f32 v19, 0.5, v19 :: v_dual_add_nc_u32 v46, s24, v46
	;; [unrolled: 11-line block ×4, first 2 shown]
	v_add_co_u32 v96, vcc_lo, s12, v16
	s_wait_alu 0xfffd
	v_add_co_ci_u32_e64 v97, null, s13, v17, vcc_lo
	v_lshlrev_b64_e32 v[16:17], 2, v[46:47]
	s_wait_loadcnt 0x3
	v_dual_mul_f32 v75, 0.5, v31 :: v_dual_add_nc_u32 v46, s24, v46
	v_add_co_u32 v98, vcc_lo, s12, v48
	s_wait_alu 0xfffd
	v_add_co_ci_u32_e64 v99, null, s13, v49, vcc_lo
	s_delay_alu instid0(VALU_DEP_3) | instskip(SKIP_4) | instid1(VALU_DEP_3)
	v_lshlrev_b64_e32 v[48:49], 2, v[46:47]
	v_dual_mul_f32 v77, 0.5, v33 :: v_dual_add_nc_u32 v46, s24, v46
	v_add_co_u32 v100, vcc_lo, s12, v16
	s_wait_alu 0xfffd
	v_add_co_ci_u32_e64 v101, null, s13, v17, vcc_lo
	v_lshlrev_b64_e32 v[16:17], 2, v[46:47]
	s_wait_loadcnt 0x2
	v_dual_mul_f32 v79, 0.5, v35 :: v_dual_add_nc_u32 v46, s24, v46
	v_add_co_u32 v102, vcc_lo, s12, v48
	s_wait_alu 0xfffd
	v_add_co_ci_u32_e64 v103, null, s13, v49, vcc_lo
	s_delay_alu instid0(VALU_DEP_3) | instskip(SKIP_4) | instid1(VALU_DEP_3)
	v_lshlrev_b64_e32 v[48:49], 2, v[46:47]
	v_dual_mul_f32 v81, 0.5, v37 :: v_dual_add_nc_u32 v46, s24, v46
	;; [unrolled: 12-line block ×3, first 2 shown]
	v_add_co_u32 v108, vcc_lo, s12, v16
	s_wait_alu 0xfffd
	v_add_co_ci_u32_e64 v109, null, s13, v17, vcc_lo
	v_lshlrev_b64_e32 v[50:51], 2, v[46:47]
	v_add_nc_u32_e32 v46, s24, v46
	v_add_co_u32 v16, vcc_lo, s12, v48
	s_wait_alu 0xfffd
	v_add_co_ci_u32_e64 v17, null, s13, v49, vcc_lo
	s_delay_alu instid0(VALU_DEP_3) | instskip(SKIP_4) | instid1(VALU_DEP_3)
	v_lshlrev_b64_e32 v[48:49], 2, v[46:47]
	v_add_nc_u32_e32 v46, s24, v46
	v_add_co_u32 v66, vcc_lo, s12, v50
	s_wait_alu 0xfffd
	v_add_co_ci_u32_e64 v67, null, s13, v51, vcc_lo
	v_lshlrev_b64_e32 v[50:51], 2, v[46:47]
	v_add_nc_u32_e32 v46, s24, v46
	v_add_co_u32 v68, vcc_lo, s12, v48
	s_wait_alu 0xfffd
	v_add_co_ci_u32_e64 v69, null, s13, v49, vcc_lo
	s_delay_alu instid0(VALU_DEP_3)
	v_lshlrev_b64_e32 v[48:49], 2, v[46:47]
	v_mul_f32_e32 v122, 0.5, v22
	v_mul_f32_e32 v76, 0.5, v32
	;; [unrolled: 1-line block ×5, first 2 shown]
	s_clause 0x1
	global_store_b32 v[44:45], v54, off
	global_store_b32 v[42:43], v55, off
	scratch_load_b128 v[42:45], off, off offset:192
	v_add_nc_u32_e32 v46, s24, v46
	s_clause 0x1
	scratch_load_b128 v[38:41], off, off offset:208
	scratch_load_b128 v[32:35], off, off offset:224
	v_mul_f32_e32 v120, 0.5, v20
	scratch_load_b128 v[20:23], off, off offset:176
	v_add_co_u32 v64, vcc_lo, s12, v50
	s_wait_alu 0xfffd
	v_add_co_ci_u32_e64 v65, null, s13, v51, vcc_lo
	v_lshlrev_b64_e32 v[50:51], 2, v[46:47]
	v_add_nc_u32_e32 v46, s24, v46
	v_mul_f32_e32 v112, 0.5, v8
	v_add_co_u32 v52, vcc_lo, s12, v48
	s_wait_alu 0xfffd
	v_add_co_ci_u32_e64 v53, null, s13, v49, vcc_lo
	v_lshlrev_b64_e32 v[8:9], 2, v[46:47]
	v_add_nc_u32_e32 v46, s24, v46
	v_add_co_u32 v50, vcc_lo, s12, v50
	v_mul_f32_e32 v80, 0.5, v36
	s_wait_alu 0xfffd
	v_add_co_ci_u32_e64 v51, null, s13, v51, vcc_lo
	v_add_co_u32 v36, vcc_lo, s12, v8
	s_wait_alu 0xfffd
	v_add_co_ci_u32_e64 v37, null, s13, v9, vcc_lo
	v_lshlrev_b64_e32 v[8:9], 2, v[46:47]
	v_add_nc_u32_e32 v46, s24, v46
	v_mul_f32_e32 v0, 0.5, v27
	v_mul_f32_e32 v86, 0.5, v29
	;; [unrolled: 1-line block ×3, first 2 shown]
	scratch_load_b128 v[28:31], off, off offset:240
	v_add_co_u32 v48, vcc_lo, s12, v8
	s_wait_alu 0xfffd
	v_add_co_ci_u32_e64 v49, null, s13, v9, vcc_lo
	v_lshlrev_b64_e32 v[8:9], 2, v[46:47]
	v_add_nc_u32_e32 v46, s24, v46
	v_mul_f32_e32 v110, 0.5, v2
	v_mul_f32_e32 v2, 0.5, v25
	scratch_load_b128 v[24:27], off, off offset:256
	v_mul_f32_e32 v114, 0.5, v10
	v_lshlrev_b64_e32 v[10:11], 2, v[46:47]
	v_add_nc_u32_e32 v46, s24, v46
	v_add_co_u32 v54, vcc_lo, s12, v8
	s_wait_alu 0xfffd
	v_add_co_ci_u32_e64 v55, null, s13, v9, vcc_lo
	s_delay_alu instid0(VALU_DEP_3) | instskip(SKIP_4) | instid1(VALU_DEP_4)
	v_lshlrev_b64_e32 v[8:9], 2, v[46:47]
	v_add_nc_u32_e32 v46, s24, v46
	v_add_co_u32 v56, vcc_lo, s12, v10
	s_wait_alu 0xfffd
	v_add_co_ci_u32_e64 v57, null, s13, v11, vcc_lo
	v_add_co_u32 v58, vcc_lo, s12, v8
	s_wait_alu 0xfffd
	v_add_co_ci_u32_e64 v59, null, s13, v9, vcc_lo
	v_lshlrev_b64_e32 v[8:9], 2, v[46:47]
	v_add_nc_u32_e32 v46, s24, v46
	s_clause 0x1
	global_store_b32 v[60:61], v110, off
	global_store_b32 v[62:63], v111, off
	v_mul_f32_e32 v116, 0.5, v12
	v_mul_f32_e32 v118, 0.5, v14
	v_lshlrev_b64_e32 v[10:11], 2, v[46:47]
	v_add_co_u32 v60, vcc_lo, s12, v8
	s_wait_alu 0xfffd
	v_add_co_ci_u32_e64 v61, null, s13, v9, vcc_lo
	v_add_nc_u32_e32 v46, s24, v46
	s_delay_alu instid0(VALU_DEP_4)
	v_add_co_u32 v62, vcc_lo, s12, v10
	s_wait_alu 0xfffd
	v_add_co_ci_u32_e64 v63, null, s13, v11, vcc_lo
	scratch_load_b128 v[8:11], off, off offset:160
	v_lshlrev_b64_e32 v[12:13], 2, v[46:47]
	v_add_nc_u32_e32 v46, s24, v46
	v_mul_f32_e32 v18, 0.5, v18
	s_clause 0x2
	global_store_b32 v[70:71], v112, off
	global_store_b32 v[72:73], v113, off
	;; [unrolled: 1-line block ×3, first 2 shown]
	v_lshlrev_b64_e32 v[14:15], 2, v[46:47]
	v_add_nc_u32_e32 v46, s24, v46
	v_add_co_u32 v70, vcc_lo, s12, v12
	s_wait_alu 0xfffd
	v_add_co_ci_u32_e64 v71, null, s13, v13, vcc_lo
	s_delay_alu instid0(VALU_DEP_3)
	v_lshlrev_b64_e32 v[12:13], 2, v[46:47]
	v_add_nc_u32_e32 v46, s24, v46
	s_clause 0xa
	global_store_b32 v[90:91], v115, off
	global_store_b32 v[92:93], v116, off
	;; [unrolled: 1-line block ×11, first 2 shown]
	scratch_load_b128 v[16:19], off, off offset:272
	v_add_co_u32 v72, vcc_lo, s12, v14
	s_wait_alu 0xfffd
	v_add_co_ci_u32_e64 v73, null, s13, v15, vcc_lo
	v_lshlrev_b64_e32 v[14:15], 2, v[46:47]
	v_add_nc_u32_e32 v46, s24, v46
	v_add_co_u32 v88, vcc_lo, s12, v12
	s_wait_alu 0xfffd
	v_add_co_ci_u32_e64 v89, null, s13, v13, vcc_lo
	s_delay_alu instid0(VALU_DEP_3) | instskip(SKIP_4) | instid1(VALU_DEP_3)
	v_lshlrev_b64_e32 v[12:13], 2, v[46:47]
	v_add_nc_u32_e32 v46, s24, v46
	v_add_co_u32 v90, vcc_lo, s12, v14
	s_wait_alu 0xfffd
	v_add_co_ci_u32_e64 v91, null, s13, v15, vcc_lo
	v_lshlrev_b64_e32 v[14:15], 2, v[46:47]
	v_add_nc_u32_e32 v46, s24, v46
	v_add_co_u32 v92, vcc_lo, s12, v12
	s_wait_alu 0xfffd
	v_add_co_ci_u32_e64 v93, null, s13, v13, vcc_lo
	s_delay_alu instid0(VALU_DEP_3)
	v_lshlrev_b64_e32 v[12:13], 2, v[46:47]
	v_add_co_u32 v94, vcc_lo, s12, v14
	s_wait_alu 0xfffd
	v_add_co_ci_u32_e64 v95, null, s13, v15, vcc_lo
	global_store_b32 v[66:67], v3, off
	v_add_co_u32 v66, vcc_lo, s12, v12
	s_wait_alu 0xfffd
	v_add_co_ci_u32_e64 v67, null, s13, v13, vcc_lo
	scratch_load_b128 v[12:15], off, off offset:288
	v_add_nc_u32_e32 v46, s24, v46
	s_clause 0x3
	global_store_b32 v[68:69], v2, off
	global_store_b32 v[64:65], v1, off
	;; [unrolled: 1-line block ×4, first 2 shown]
	v_lshlrev_b64_e32 v[2:3], 2, v[46:47]
	v_add_nc_u32_e32 v46, s24, v46
	s_wait_loadcnt 0x9
	v_mul_f32_e32 v52, 0.5, v4
	global_store_b32 v[36:37], v86, off
	v_dual_mul_f32 v53, 0.5, v5 :: v_dual_mul_f32 v6, 0.5, v6
	v_add_co_u32 v68, vcc_lo, s12, v2
	s_wait_alu 0xfffd
	v_add_co_ci_u32_e64 v69, null, s13, v3, vcc_lo
	scratch_load_b128 v[0:3], off, off offset:304
	v_lshlrev_b64_e32 v[50:51], 2, v[46:47]
	v_add_nc_u32_e32 v46, s24, v46
	s_clause 0xb
	global_store_b32 v[48:49], v74, off
	global_store_b32 v[54:55], v75, off
	;; [unrolled: 1-line block ×12, first 2 shown]
	v_add_co_u32 v4, vcc_lo, s12, v50
	v_lshlrev_b64_e32 v[36:37], 2, v[46:47]
	v_add_nc_u32_e32 v46, s24, v46
	s_wait_alu 0xfffd
	v_add_co_ci_u32_e64 v5, null, s13, v51, vcc_lo
	s_clause 0x2
	global_store_b32 v[66:67], v52, off
	global_store_b32 v[68:69], v53, off
	;; [unrolled: 1-line block ×3, first 2 shown]
	v_lshlrev_b64_e32 v[4:5], 2, v[46:47]
	v_add_co_u32 v36, vcc_lo, s12, v36
	s_wait_alu 0xfffd
	v_add_co_ci_u32_e64 v37, null, s13, v37, vcc_lo
	v_mul_f32_e32 v52, 0.5, v7
	s_delay_alu instid0(VALU_DEP_4) | instskip(SKIP_4) | instid1(VALU_DEP_1)
	v_add_co_u32 v50, vcc_lo, s12, v4
	s_wait_alu 0xfffd
	v_add_co_ci_u32_e64 v51, null, s13, v5, vcc_lo
	scratch_load_b128 v[4:7], off, off offset:320
	v_add_nc_u32_e32 v46, s24, v46
	v_lshlrev_b64_e32 v[48:49], 2, v[46:47]
	v_add_nc_u32_e32 v46, s24, v46
	s_wait_loadcnt 0xa
	v_mul_f32_e32 v44, 0.5, v44
	s_wait_loadcnt 0x8
	v_mul_f32_e32 v32, 0.5, v32
	;; [unrolled: 2-line block ×3, first 2 shown]
	s_wait_loadcnt 0x5
	v_dual_mul_f32 v30, 0.5, v30 :: v_dual_mul_f32 v55, 0.5, v27
	s_wait_loadcnt 0x4
	v_mul_f32_e32 v53, 0.5, v8
	v_add_co_u32 v8, vcc_lo, s12, v48
	v_mul_f32_e32 v54, 0.5, v9
	s_wait_alu 0xfffd
	v_add_co_ci_u32_e64 v9, null, s13, v49, vcc_lo
	v_lshlrev_b64_e32 v[48:49], 2, v[46:47]
	v_add_nc_u32_e32 v46, s24, v46
	s_clause 0x2
	global_store_b32 v[36:37], v52, off
	global_store_b32 v[50:51], v53, off
	;; [unrolled: 1-line block ×3, first 2 shown]
	v_dual_mul_f32 v50, 0.5, v10 :: v_dual_mul_f32 v51, 0.5, v11
	v_mul_f32_e32 v52, 0.5, v23
	v_lshlrev_b64_e32 v[8:9], 2, v[46:47]
	v_add_nc_u32_e32 v46, s24, v46
	v_add_co_u32 v36, vcc_lo, s12, v48
	s_wait_alu 0xfffd
	v_add_co_ci_u32_e64 v37, null, s13, v49, vcc_lo
	s_delay_alu instid0(VALU_DEP_3) | instskip(SKIP_4) | instid1(VALU_DEP_4)
	v_lshlrev_b64_e32 v[10:11], 2, v[46:47]
	v_add_nc_u32_e32 v46, s24, v46
	v_add_co_u32 v8, vcc_lo, s12, v8
	s_wait_alu 0xfffd
	v_add_co_ci_u32_e64 v9, null, s13, v9, vcc_lo
	v_add_co_u32 v10, vcc_lo, s12, v10
	v_lshlrev_b64_e32 v[48:49], 2, v[46:47]
	v_add_nc_u32_e32 v46, s24, v46
	s_wait_alu 0xfffd
	v_add_co_ci_u32_e64 v11, null, s13, v11, vcc_lo
	s_clause 0x2
	global_store_b32 v[36:37], v50, off
	global_store_b32 v[8:9], v51, off
	;; [unrolled: 1-line block ×3, first 2 shown]
	v_mul_f32_e32 v50, 0.5, v21
	v_lshlrev_b64_e32 v[20:21], 2, v[46:47]
	v_add_nc_u32_e32 v46, s24, v46
	v_add_co_u32 v36, vcc_lo, s12, v48
	scratch_load_b128 v[8:11], off, off offset:336
	s_wait_alu 0xfffd
	v_add_co_ci_u32_e64 v37, null, s13, v49, vcc_lo
	v_lshlrev_b64_e32 v[48:49], 2, v[46:47]
	v_add_nc_u32_e32 v46, s24, v46
	v_add_co_u32 v20, vcc_lo, s12, v20
	v_mul_f32_e32 v51, 0.5, v22
	s_wait_alu 0xfffd
	v_add_co_ci_u32_e64 v21, null, s13, v21, vcc_lo
	v_add_co_u32 v22, vcc_lo, s12, v48
	s_wait_alu 0xfffd
	v_add_co_ci_u32_e64 v23, null, s13, v49, vcc_lo
	v_lshlrev_b64_e32 v[48:49], 2, v[46:47]
	v_add_nc_u32_e32 v46, s24, v46
	s_clause 0x2
	global_store_b32 v[36:37], v50, off
	global_store_b32 v[20:21], v51, off
	;; [unrolled: 1-line block ×3, first 2 shown]
	v_dual_mul_f32 v52, 0.5, v42 :: v_dual_mul_f32 v53, 0.5, v43
	scratch_load_b128 v[20:23], off, off offset:352
	v_lshlrev_b64_e32 v[36:37], 2, v[46:47]
	v_add_nc_u32_e32 v46, s24, v46
	v_add_co_u32 v48, vcc_lo, s12, v48
	s_wait_alu 0xfffd
	v_add_co_ci_u32_e64 v49, null, s13, v49, vcc_lo
	s_delay_alu instid0(VALU_DEP_3) | instskip(SKIP_4) | instid1(VALU_DEP_4)
	v_lshlrev_b64_e32 v[42:43], 2, v[46:47]
	v_add_nc_u32_e32 v46, s24, v46
	v_add_co_u32 v36, vcc_lo, s12, v36
	s_wait_alu 0xfffd
	v_add_co_ci_u32_e64 v37, null, s13, v37, vcc_lo
	v_add_co_u32 v42, vcc_lo, s12, v42
	v_lshlrev_b64_e32 v[50:51], 2, v[46:47]
	v_add_nc_u32_e32 v46, s24, v46
	s_wait_alu 0xfffd
	v_add_co_ci_u32_e64 v43, null, s13, v43, vcc_lo
	s_clause 0x2
	global_store_b32 v[48:49], v52, off
	global_store_b32 v[36:37], v53, off
	;; [unrolled: 1-line block ×3, first 2 shown]
	v_lshlrev_b64_e32 v[36:37], 2, v[46:47]
	v_add_nc_u32_e32 v46, s24, v46
	v_mul_f32_e32 v52, 0.5, v45
	v_add_co_u32 v42, vcc_lo, s12, v50
	s_wait_alu 0xfffd
	v_add_co_ci_u32_e64 v43, null, s13, v51, vcc_lo
	v_lshlrev_b64_e32 v[44:45], 2, v[46:47]
	v_add_nc_u32_e32 v46, s24, v46
	v_add_co_u32 v48, vcc_lo, s12, v36
	s_wait_alu 0xfffd
	v_add_co_ci_u32_e64 v49, null, s13, v37, vcc_lo
	s_delay_alu instid0(VALU_DEP_4)
	v_add_co_u32 v44, vcc_lo, s12, v44
	v_lshlrev_b64_e32 v[50:51], 2, v[46:47]
	v_add_nc_u32_e32 v46, s24, v46
	v_dual_mul_f32 v53, 0.5, v38 :: v_dual_mul_f32 v54, 0.5, v39
	scratch_load_b128 v[36:39], off, off offset:368
	s_wait_alu 0xfffd
	v_add_co_ci_u32_e64 v45, null, s13, v45, vcc_lo
	s_clause 0x2
	global_store_b32 v[42:43], v52, off
	global_store_b32 v[48:49], v53, off
	;; [unrolled: 1-line block ×3, first 2 shown]
	v_lshlrev_b64_e32 v[42:43], 2, v[46:47]
	v_add_nc_u32_e32 v46, s24, v46
	v_mul_f32_e32 v48, 0.5, v40
	v_add_co_u32 v44, vcc_lo, s12, v50
	v_mul_f32_e32 v49, 0.5, v41
	s_delay_alu instid0(VALU_DEP_4)
	v_lshlrev_b64_e32 v[40:41], 2, v[46:47]
	s_wait_alu 0xfffd
	v_add_co_ci_u32_e64 v45, null, s13, v51, vcc_lo
	v_add_nc_u32_e32 v46, s24, v46
	v_add_co_u32 v42, vcc_lo, s12, v42
	s_wait_alu 0xfffd
	v_add_co_ci_u32_e64 v43, null, s13, v43, vcc_lo
	v_add_co_u32 v40, vcc_lo, s12, v40
	global_store_b32 v[44:45], v48, off
	v_lshlrev_b64_e32 v[44:45], 2, v[46:47]
	v_add_nc_u32_e32 v46, s24, v46
	s_wait_alu 0xfffd
	v_add_co_ci_u32_e64 v41, null, s13, v41, vcc_lo
	s_clause 0x1
	global_store_b32 v[42:43], v49, off
	global_store_b32 v[40:41], v32, off
	v_mul_f32_e32 v50, 0.5, v33
	v_lshlrev_b64_e32 v[32:33], 2, v[46:47]
	v_add_nc_u32_e32 v46, s24, v46
	v_add_co_u32 v44, vcc_lo, s12, v44
	scratch_load_b128 v[40:43], off, off offset:384
	s_wait_alu 0xfffd
	v_add_co_ci_u32_e64 v45, null, s13, v45, vcc_lo
	v_lshlrev_b64_e32 v[48:49], 2, v[46:47]
	v_add_nc_u32_e32 v46, s24, v46
	v_add_co_u32 v32, vcc_lo, s12, v32
	v_mul_f32_e32 v51, 0.5, v34
	s_wait_alu 0xfffd
	v_add_co_ci_u32_e64 v33, null, s13, v33, vcc_lo
	v_add_co_u32 v34, vcc_lo, s12, v48
	v_mul_f32_e32 v52, 0.5, v35
	s_wait_alu 0xfffd
	v_add_co_ci_u32_e64 v35, null, s13, v49, vcc_lo
	v_lshlrev_b64_e32 v[48:49], 2, v[46:47]
	v_add_nc_u32_e32 v46, s24, v46
	s_clause 0x2
	global_store_b32 v[44:45], v50, off
	global_store_b32 v[32:33], v51, off
	global_store_b32 v[34:35], v52, off
	v_dual_mul_f32 v52, 0.5, v28 :: v_dual_mul_f32 v53, 0.5, v29
	scratch_load_b128 v[32:35], off, off offset:400
	v_lshlrev_b64_e32 v[44:45], 2, v[46:47]
	v_add_nc_u32_e32 v46, s24, v46
	v_add_co_u32 v48, vcc_lo, s12, v48
	s_wait_alu 0xfffd
	v_add_co_ci_u32_e64 v49, null, s13, v49, vcc_lo
	s_delay_alu instid0(VALU_DEP_3) | instskip(SKIP_4) | instid1(VALU_DEP_4)
	v_lshlrev_b64_e32 v[28:29], 2, v[46:47]
	v_add_nc_u32_e32 v46, s24, v46
	v_add_co_u32 v44, vcc_lo, s12, v44
	s_wait_alu 0xfffd
	v_add_co_ci_u32_e64 v45, null, s13, v45, vcc_lo
	v_add_co_u32 v28, vcc_lo, s12, v28
	v_lshlrev_b64_e32 v[50:51], 2, v[46:47]
	v_add_nc_u32_e32 v46, s24, v46
	s_wait_alu 0xfffd
	v_add_co_ci_u32_e64 v29, null, s13, v29, vcc_lo
	s_clause 0x2
	global_store_b32 v[48:49], v52, off
	global_store_b32 v[44:45], v53, off
	;; [unrolled: 1-line block ×3, first 2 shown]
	v_lshlrev_b64_e32 v[44:45], 2, v[46:47]
	v_add_nc_u32_e32 v46, s24, v46
	v_add_co_u32 v48, vcc_lo, s12, v50
	s_wait_alu 0xfffd
	v_add_co_ci_u32_e64 v49, null, s13, v51, vcc_lo
	s_delay_alu instid0(VALU_DEP_3)
	v_lshlrev_b64_e32 v[50:51], 2, v[46:47]
	v_add_nc_u32_e32 v46, s24, v46
	v_mul_f32_e32 v52, 0.5, v31
	scratch_load_b128 v[28:31], off, off offset:416
	v_add_co_u32 v44, vcc_lo, s12, v44
	v_mul_f32_e32 v53, 0.5, v24
	s_wait_alu 0xfffd
	v_add_co_ci_u32_e64 v45, null, s13, v45, vcc_lo
	v_add_co_u32 v24, vcc_lo, s12, v50
	v_mul_f32_e32 v54, 0.5, v25
	s_wait_alu 0xfffd
	v_add_co_ci_u32_e64 v25, null, s13, v51, vcc_lo
	v_lshlrev_b64_e32 v[50:51], 2, v[46:47]
	v_add_nc_u32_e32 v46, s24, v46
	s_clause 0x2
	global_store_b32 v[48:49], v52, off
	global_store_b32 v[44:45], v53, off
	global_store_b32 v[24:25], v54, off
	v_mul_f32_e32 v54, 0.5, v26
	s_wait_loadcnt 0x9
	v_mul_f32_e32 v16, 0.5, v16
	s_wait_loadcnt 0x8
	v_mul_f32_e32 v14, 0.5, v14
	v_lshlrev_b64_e32 v[24:25], 2, v[46:47]
	v_add_nc_u32_e32 v46, s24, v46
	v_add_co_u32 v44, vcc_lo, s12, v50
	s_wait_alu 0xfffd
	v_add_co_ci_u32_e64 v45, null, s13, v51, vcc_lo
	s_delay_alu instid0(VALU_DEP_3) | instskip(SKIP_4) | instid1(VALU_DEP_4)
	v_lshlrev_b64_e32 v[26:27], 2, v[46:47]
	v_add_nc_u32_e32 v46, s24, v46
	v_add_co_u32 v48, vcc_lo, s12, v24
	s_wait_alu 0xfffd
	v_add_co_ci_u32_e64 v49, null, s13, v25, vcc_lo
	v_add_co_u32 v50, vcc_lo, s12, v26
	v_lshlrev_b64_e32 v[52:53], 2, v[46:47]
	v_add_nc_u32_e32 v46, s24, v46
	s_wait_alu 0xfffd
	v_add_co_ci_u32_e64 v51, null, s13, v27, vcc_lo
	scratch_load_b128 v[24:27], off, off offset:432
	s_clause 0x2
	global_store_b32 v[44:45], v54, off
	global_store_b32 v[48:49], v55, off
	;; [unrolled: 1-line block ×3, first 2 shown]
	v_mul_f32_e32 v50, 0.5, v17
	v_lshlrev_b64_e32 v[16:17], 2, v[46:47]
	v_add_nc_u32_e32 v46, s24, v46
	v_add_co_u32 v44, vcc_lo, s12, v52
	s_wait_alu 0xfffd
	v_add_co_ci_u32_e64 v45, null, s13, v53, vcc_lo
	s_delay_alu instid0(VALU_DEP_3)
	v_lshlrev_b64_e32 v[48:49], 2, v[46:47]
	v_add_nc_u32_e32 v46, s24, v46
	v_add_co_u32 v16, vcc_lo, s12, v16
	v_mul_f32_e32 v51, 0.5, v18
	s_wait_alu 0xfffd
	v_add_co_ci_u32_e64 v17, null, s13, v17, vcc_lo
	v_add_co_u32 v18, vcc_lo, s12, v48
	v_mul_f32_e32 v52, 0.5, v19
	s_wait_alu 0xfffd
	v_add_co_ci_u32_e64 v19, null, s13, v49, vcc_lo
	v_lshlrev_b64_e32 v[48:49], 2, v[46:47]
	v_add_nc_u32_e32 v46, s24, v46
	s_clause 0x2
	global_store_b32 v[44:45], v50, off
	global_store_b32 v[16:17], v51, off
	;; [unrolled: 1-line block ×3, first 2 shown]
	scratch_load_b128 v[16:19], off, off offset:448
	v_dual_mul_f32 v52, 0.5, v12 :: v_dual_mul_f32 v53, 0.5, v13
	v_lshlrev_b64_e32 v[44:45], 2, v[46:47]
	v_add_nc_u32_e32 v46, s24, v46
	v_add_co_u32 v48, vcc_lo, s12, v48
	s_wait_alu 0xfffd
	v_add_co_ci_u32_e64 v49, null, s13, v49, vcc_lo
	s_delay_alu instid0(VALU_DEP_3) | instskip(SKIP_4) | instid1(VALU_DEP_4)
	v_lshlrev_b64_e32 v[12:13], 2, v[46:47]
	v_add_nc_u32_e32 v46, s24, v46
	v_add_co_u32 v44, vcc_lo, s12, v44
	s_wait_alu 0xfffd
	v_add_co_ci_u32_e64 v45, null, s13, v45, vcc_lo
	v_add_co_u32 v12, vcc_lo, s12, v12
	v_lshlrev_b64_e32 v[50:51], 2, v[46:47]
	v_add_nc_u32_e32 v46, s24, v46
	s_wait_alu 0xfffd
	v_add_co_ci_u32_e64 v13, null, s13, v13, vcc_lo
	s_clause 0x2
	global_store_b32 v[48:49], v52, off
	global_store_b32 v[44:45], v53, off
	global_store_b32 v[12:13], v14, off
	v_lshlrev_b64_e32 v[44:45], 2, v[46:47]
	v_add_nc_u32_e32 v46, s24, v46
	v_add_co_u32 v48, vcc_lo, s12, v50
	s_wait_alu 0xfffd
	v_add_co_ci_u32_e64 v49, null, s13, v51, vcc_lo
	s_delay_alu instid0(VALU_DEP_3)
	v_lshlrev_b64_e32 v[50:51], 2, v[46:47]
	v_mul_f32_e32 v52, 0.5, v15
	scratch_load_b128 v[12:15], off, off offset:464
	v_add_nc_u32_e32 v46, s24, v46
	v_add_co_u32 v44, vcc_lo, s12, v44
	s_wait_loadcnt 0xa
	v_mul_f32_e32 v53, 0.5, v0
	s_wait_alu 0xfffd
	v_add_co_ci_u32_e64 v45, null, s13, v45, vcc_lo
	v_add_co_u32 v0, vcc_lo, s12, v50
	v_mul_f32_e32 v54, 0.5, v1
	s_wait_alu 0xfffd
	v_add_co_ci_u32_e64 v1, null, s13, v51, vcc_lo
	v_lshlrev_b64_e32 v[50:51], 2, v[46:47]
	v_add_nc_u32_e32 v46, s24, v46
	s_clause 0x2
	global_store_b32 v[48:49], v52, off
	global_store_b32 v[44:45], v53, off
	;; [unrolled: 1-line block ×3, first 2 shown]
	v_dual_mul_f32 v54, 0.5, v2 :: v_dual_mul_f32 v55, 0.5, v3
	s_wait_loadcnt 0x9
	v_mul_f32_e32 v4, 0.5, v4
	v_lshlrev_b64_e32 v[0:1], 2, v[46:47]
	v_add_nc_u32_e32 v46, s24, v46
	v_add_co_u32 v44, vcc_lo, s12, v50
	s_wait_alu 0xfffd
	v_add_co_ci_u32_e64 v45, null, s13, v51, vcc_lo
	s_delay_alu instid0(VALU_DEP_3) | instskip(SKIP_4) | instid1(VALU_DEP_4)
	v_lshlrev_b64_e32 v[48:49], 2, v[46:47]
	v_add_nc_u32_e32 v46, s24, v46
	v_add_co_u32 v50, vcc_lo, s12, v0
	s_wait_alu 0xfffd
	v_add_co_ci_u32_e64 v51, null, s13, v1, vcc_lo
	v_add_co_u32 v48, vcc_lo, s12, v48
	v_lshlrev_b64_e32 v[52:53], 2, v[46:47]
	v_add_nc_u32_e32 v46, s24, v46
	scratch_load_b128 v[0:3], off, off offset:480
	s_wait_alu 0xfffd
	v_add_co_ci_u32_e64 v49, null, s13, v49, vcc_lo
	s_clause 0x2
	global_store_b32 v[44:45], v54, off
	global_store_b32 v[50:51], v55, off
	global_store_b32 v[48:49], v4, off
	v_mul_f32_e32 v50, 0.5, v5
	v_lshlrev_b64_e32 v[4:5], 2, v[46:47]
	v_add_nc_u32_e32 v46, s24, v46
	v_add_co_u32 v44, vcc_lo, s12, v52
	s_wait_alu 0xfffd
	v_add_co_ci_u32_e64 v45, null, s13, v53, vcc_lo
	s_delay_alu instid0(VALU_DEP_3) | instskip(SKIP_4) | instid1(VALU_DEP_4)
	v_lshlrev_b64_e32 v[48:49], 2, v[46:47]
	v_add_co_u32 v4, vcc_lo, s12, v4
	v_mul_f32_e32 v51, 0.5, v6
	s_wait_alu 0xfffd
	v_add_co_ci_u32_e64 v5, null, s13, v5, vcc_lo
	v_add_co_u32 v6, vcc_lo, s12, v48
	v_mul_f32_e32 v52, 0.5, v7
	s_wait_alu 0xfffd
	v_add_co_ci_u32_e64 v7, null, s13, v49, vcc_lo
	s_clause 0x2
	global_store_b32 v[44:45], v50, off
	global_store_b32 v[4:5], v51, off
	global_store_b32 v[6:7], v52, off
	scratch_load_b128 v[4:7], off, off offset:496
	v_add_nc_u32_e32 v46, s24, v46
	s_delay_alu instid0(VALU_DEP_1) | instskip(SKIP_1) | instid1(VALU_DEP_1)
	v_lshlrev_b64_e32 v[44:45], 2, v[46:47]
	v_add_nc_u32_e32 v46, s24, v46
	v_lshlrev_b64_e32 v[48:49], 2, v[46:47]
	v_add_nc_u32_e32 v46, s24, v46
	s_delay_alu instid0(VALU_DEP_4) | instskip(SKIP_2) | instid1(VALU_DEP_4)
	v_add_co_u32 v44, vcc_lo, s12, v44
	s_wait_alu 0xfffd
	v_add_co_ci_u32_e64 v45, null, s13, v45, vcc_lo
	v_add_co_u32 v48, vcc_lo, s12, v48
	s_wait_alu 0xfffd
	v_add_co_ci_u32_e64 v49, null, s13, v49, vcc_lo
	s_wait_loadcnt 0xa
	v_dual_mul_f32 v52, 0.5, v8 :: v_dual_mul_f32 v53, 0.5, v9
	v_lshlrev_b64_e32 v[8:9], 2, v[46:47]
	v_add_nc_u32_e32 v46, s24, v46
	v_mul_f32_e32 v10, 0.5, v10
	s_delay_alu instid0(VALU_DEP_3) | instskip(NEXT) | instid1(VALU_DEP_3)
	v_add_co_u32 v8, vcc_lo, s12, v8
	v_lshlrev_b64_e32 v[50:51], 2, v[46:47]
	v_add_nc_u32_e32 v46, s24, v46
	s_wait_alu 0xfffd
	v_add_co_ci_u32_e64 v9, null, s13, v9, vcc_lo
	s_clause 0x2
	global_store_b32 v[44:45], v52, off
	global_store_b32 v[48:49], v53, off
	;; [unrolled: 1-line block ×3, first 2 shown]
	v_lshlrev_b64_e32 v[8:9], 2, v[46:47]
	v_add_nc_u32_e32 v46, s24, v46
	v_add_co_u32 v10, vcc_lo, s12, v50
	v_mul_f32_e32 v48, 0.5, v11
	s_wait_alu 0xfffd
	v_add_co_ci_u32_e64 v11, null, s13, v51, vcc_lo
	v_lshlrev_b64_e32 v[44:45], 2, v[46:47]
	v_add_nc_u32_e32 v46, s24, v46
	v_add_co_u32 v8, vcc_lo, s12, v8
	s_wait_loadcnt 0x9
	v_mul_f32_e32 v49, 0.5, v20
	s_wait_alu 0xfffd
	v_add_co_ci_u32_e64 v9, null, s13, v9, vcc_lo
	v_add_co_u32 v20, vcc_lo, s12, v44
	v_mul_f32_e32 v50, 0.5, v21
	s_wait_alu 0xfffd
	v_add_co_ci_u32_e64 v21, null, s13, v45, vcc_lo
	v_lshlrev_b64_e32 v[44:45], 2, v[46:47]
	v_add_nc_u32_e32 v46, s24, v46
	s_clause 0x2
	global_store_b32 v[10:11], v48, off
	global_store_b32 v[8:9], v49, off
	;; [unrolled: 1-line block ×3, first 2 shown]
	v_mul_f32_e32 v48, 0.5, v22
	v_lshlrev_b64_e32 v[8:9], 2, v[46:47]
	v_add_nc_u32_e32 v46, s24, v46
	v_add_co_u32 v10, vcc_lo, s12, v44
	s_wait_alu 0xfffd
	v_add_co_ci_u32_e64 v11, null, s13, v45, vcc_lo
	s_delay_alu instid0(VALU_DEP_3)
	v_lshlrev_b64_e32 v[20:21], 2, v[46:47]
	v_add_nc_u32_e32 v46, s24, v46
	v_add_co_u32 v8, vcc_lo, s12, v8
	v_mul_f32_e32 v44, 0.5, v23
	s_wait_alu 0xfffd
	v_add_co_ci_u32_e64 v9, null, s13, v9, vcc_lo
	v_add_co_u32 v20, vcc_lo, s12, v20
	v_lshlrev_b64_e32 v[22:23], 2, v[46:47]
	v_add_nc_u32_e32 v46, s24, v46
	s_wait_alu 0xfffd
	v_add_co_ci_u32_e64 v21, null, s13, v21, vcc_lo
	s_wait_loadcnt 0x8
	v_mul_f32_e32 v36, 0.5, v36
	s_clause 0x2
	global_store_b32 v[10:11], v48, off
	global_store_b32 v[8:9], v44, off
	;; [unrolled: 1-line block ×3, first 2 shown]
	v_lshlrev_b64_e32 v[8:9], 2, v[46:47]
	v_add_nc_u32_e32 v46, s24, v46
	v_add_co_u32 v10, vcc_lo, s12, v22
	s_wait_alu 0xfffd
	v_add_co_ci_u32_e64 v11, null, s13, v23, vcc_lo
	s_delay_alu instid0(VALU_DEP_3)
	v_lshlrev_b64_e32 v[20:21], 2, v[46:47]
	v_add_nc_u32_e32 v46, s24, v46
	v_add_co_u32 v8, vcc_lo, s12, v8
	v_mul_f32_e32 v36, 0.5, v37
	s_wait_alu 0xfffd
	v_add_co_ci_u32_e64 v9, null, s13, v9, vcc_lo
	v_add_co_u32 v20, vcc_lo, s12, v20
	v_lshlrev_b64_e32 v[22:23], 2, v[46:47]
	v_add_nc_u32_e32 v46, s24, v46
	v_dual_mul_f32 v37, 0.5, v38 :: v_dual_mul_f32 v38, 0.5, v39
	s_wait_alu 0xfffd
	v_add_co_ci_u32_e64 v21, null, s13, v21, vcc_lo
	s_clause 0x2
	global_store_b32 v[10:11], v36, off
	global_store_b32 v[8:9], v37, off
	;; [unrolled: 1-line block ×3, first 2 shown]
	v_lshlrev_b64_e32 v[8:9], 2, v[46:47]
	v_add_nc_u32_e32 v46, s24, v46
	v_add_co_u32 v10, vcc_lo, s12, v22
	s_wait_alu 0xfffd
	v_add_co_ci_u32_e64 v11, null, s13, v23, vcc_lo
	s_delay_alu instid0(VALU_DEP_3)
	v_lshlrev_b64_e32 v[20:21], 2, v[46:47]
	v_add_nc_u32_e32 v46, s24, v46
	v_add_co_u32 v8, vcc_lo, s12, v8
	s_wait_loadcnt 0x7
	v_mul_f32_e32 v36, 0.5, v40
	s_wait_alu 0xfffd
	v_add_co_ci_u32_e64 v9, null, s13, v9, vcc_lo
	v_add_co_u32 v20, vcc_lo, s12, v20
	v_lshlrev_b64_e32 v[22:23], 2, v[46:47]
	v_dual_mul_f32 v37, 0.5, v41 :: v_dual_add_nc_u32 v46, s24, v46
	v_mul_f32_e32 v38, 0.5, v42
	s_wait_alu 0xfffd
	v_add_co_ci_u32_e64 v21, null, s13, v21, vcc_lo
	s_clause 0x2
	global_store_b32 v[10:11], v36, off
	global_store_b32 v[8:9], v37, off
	;; [unrolled: 1-line block ×3, first 2 shown]
	v_lshlrev_b64_e32 v[8:9], 2, v[46:47]
	v_add_nc_u32_e32 v46, s24, v46
	v_add_co_u32 v10, vcc_lo, s12, v22
	s_wait_alu 0xfffd
	v_add_co_ci_u32_e64 v11, null, s13, v23, vcc_lo
	s_delay_alu instid0(VALU_DEP_3)
	v_lshlrev_b64_e32 v[20:21], 2, v[46:47]
	v_add_nc_u32_e32 v46, s24, v46
	v_add_co_u32 v8, vcc_lo, s12, v8
	v_mul_f32_e32 v36, 0.5, v43
	s_wait_alu 0xfffd
	v_add_co_ci_u32_e64 v9, null, s13, v9, vcc_lo
	v_add_co_u32 v20, vcc_lo, s12, v20
	v_lshlrev_b64_e32 v[22:23], 2, v[46:47]
	v_add_nc_u32_e32 v46, s24, v46
	s_wait_loadcnt 0x6
	v_dual_mul_f32 v32, 0.5, v32 :: v_dual_mul_f32 v33, 0.5, v33
	s_wait_alu 0xfffd
	v_add_co_ci_u32_e64 v21, null, s13, v21, vcc_lo
	s_clause 0x2
	global_store_b32 v[10:11], v36, off
	global_store_b32 v[8:9], v32, off
	;; [unrolled: 1-line block ×3, first 2 shown]
	v_lshlrev_b64_e32 v[8:9], 2, v[46:47]
	v_add_nc_u32_e32 v46, s24, v46
	v_add_co_u32 v10, vcc_lo, s12, v22
	s_wait_alu 0xfffd
	v_add_co_ci_u32_e64 v11, null, s13, v23, vcc_lo
	s_delay_alu instid0(VALU_DEP_3)
	v_lshlrev_b64_e32 v[20:21], 2, v[46:47]
	v_add_nc_u32_e32 v46, s24, v46
	v_add_co_u32 v8, vcc_lo, s12, v8
	v_mul_f32_e32 v32, 0.5, v34
	s_wait_alu 0xfffd
	v_add_co_ci_u32_e64 v9, null, s13, v9, vcc_lo
	v_add_co_u32 v20, vcc_lo, s12, v20
	v_lshlrev_b64_e32 v[22:23], 2, v[46:47]
	v_dual_mul_f32 v33, 0.5, v35 :: v_dual_add_nc_u32 v46, s24, v46
	s_wait_loadcnt 0x5
	v_mul_f32_e32 v28, 0.5, v28
	s_wait_alu 0xfffd
	v_add_co_ci_u32_e64 v21, null, s13, v21, vcc_lo
	s_clause 0x2
	global_store_b32 v[10:11], v32, off
	global_store_b32 v[8:9], v33, off
	;; [unrolled: 1-line block ×3, first 2 shown]
	v_lshlrev_b64_e32 v[8:9], 2, v[46:47]
	v_add_nc_u32_e32 v46, s24, v46
	v_add_co_u32 v10, vcc_lo, s12, v22
	s_wait_alu 0xfffd
	v_add_co_ci_u32_e64 v11, null, s13, v23, vcc_lo
	s_delay_alu instid0(VALU_DEP_3)
	v_lshlrev_b64_e32 v[20:21], 2, v[46:47]
	v_add_nc_u32_e32 v46, s24, v46
	v_add_co_u32 v8, vcc_lo, s12, v8
	v_mul_f32_e32 v28, 0.5, v29
	s_wait_alu 0xfffd
	v_add_co_ci_u32_e64 v9, null, s13, v9, vcc_lo
	v_add_co_u32 v20, vcc_lo, s12, v20
	v_lshlrev_b64_e32 v[22:23], 2, v[46:47]
	v_add_nc_u32_e32 v46, s24, v46
	v_dual_mul_f32 v29, 0.5, v30 :: v_dual_mul_f32 v30, 0.5, v31
	s_wait_alu 0xfffd
	v_add_co_ci_u32_e64 v21, null, s13, v21, vcc_lo
	s_clause 0x2
	global_store_b32 v[10:11], v28, off
	global_store_b32 v[8:9], v29, off
	;; [unrolled: 1-line block ×3, first 2 shown]
	v_lshlrev_b64_e32 v[8:9], 2, v[46:47]
	v_add_nc_u32_e32 v46, s24, v46
	v_add_co_u32 v10, vcc_lo, s12, v22
	s_wait_alu 0xfffd
	v_add_co_ci_u32_e64 v11, null, s13, v23, vcc_lo
	s_delay_alu instid0(VALU_DEP_3)
	v_lshlrev_b64_e32 v[20:21], 2, v[46:47]
	v_add_nc_u32_e32 v46, s24, v46
	v_add_co_u32 v8, vcc_lo, s12, v8
	s_wait_loadcnt 0x4
	v_mul_f32_e32 v24, 0.5, v24
	s_wait_alu 0xfffd
	v_add_co_ci_u32_e64 v9, null, s13, v9, vcc_lo
	v_add_co_u32 v20, vcc_lo, s12, v20
	v_lshlrev_b64_e32 v[22:23], 2, v[46:47]
	v_dual_mul_f32 v25, 0.5, v25 :: v_dual_add_nc_u32 v46, s24, v46
	v_mul_f32_e32 v26, 0.5, v26
	s_wait_alu 0xfffd
	v_add_co_ci_u32_e64 v21, null, s13, v21, vcc_lo
	s_clause 0x2
	global_store_b32 v[10:11], v24, off
	global_store_b32 v[8:9], v25, off
	;; [unrolled: 1-line block ×3, first 2 shown]
	v_lshlrev_b64_e32 v[8:9], 2, v[46:47]
	v_add_nc_u32_e32 v46, s24, v46
	v_add_co_u32 v10, vcc_lo, s12, v22
	s_wait_alu 0xfffd
	v_add_co_ci_u32_e64 v11, null, s13, v23, vcc_lo
	s_delay_alu instid0(VALU_DEP_3)
	v_lshlrev_b64_e32 v[20:21], 2, v[46:47]
	v_add_nc_u32_e32 v46, s24, v46
	v_add_co_u32 v8, vcc_lo, s12, v8
	s_wait_loadcnt 0x3
	v_mul_f32_e32 v22, 0.5, v16
	s_wait_alu 0xfffd
	v_add_co_ci_u32_e64 v9, null, s13, v9, vcc_lo
	v_add_co_u32 v16, vcc_lo, s12, v20
	v_dual_mul_f32 v24, 0.5, v27 :: v_dual_mul_f32 v23, 0.5, v17
	s_wait_alu 0xfffd
	v_add_co_ci_u32_e64 v17, null, s13, v21, vcc_lo
	v_lshlrev_b64_e32 v[20:21], 2, v[46:47]
	v_add_nc_u32_e32 v46, s24, v46
	s_clause 0x2
	global_store_b32 v[10:11], v24, off
	global_store_b32 v[8:9], v22, off
	global_store_b32 v[16:17], v23, off
	v_mul_f32_e32 v22, 0.5, v18
	v_lshlrev_b64_e32 v[8:9], 2, v[46:47]
	v_add_nc_u32_e32 v46, s24, v46
	v_add_co_u32 v10, vcc_lo, s12, v20
	s_wait_alu 0xfffd
	v_add_co_ci_u32_e64 v11, null, s13, v21, vcc_lo
	s_delay_alu instid0(VALU_DEP_3)
	v_lshlrev_b64_e32 v[16:17], 2, v[46:47]
	v_add_nc_u32_e32 v46, s24, v46
	v_add_co_u32 v8, vcc_lo, s12, v8
	v_mul_f32_e32 v20, 0.5, v19
	s_wait_alu 0xfffd
	v_add_co_ci_u32_e64 v9, null, s13, v9, vcc_lo
	v_add_co_u32 v16, vcc_lo, s12, v16
	v_lshlrev_b64_e32 v[18:19], 2, v[46:47]
	v_add_nc_u32_e32 v46, s24, v46
	s_wait_loadcnt 0x2
	v_mul_f32_e32 v12, 0.5, v12
	s_wait_alu 0xfffd
	v_add_co_ci_u32_e64 v17, null, s13, v17, vcc_lo
	s_clause 0x2
	global_store_b32 v[10:11], v22, off
	global_store_b32 v[8:9], v20, off
	;; [unrolled: 1-line block ×3, first 2 shown]
	v_lshlrev_b64_e32 v[8:9], 2, v[46:47]
	v_add_nc_u32_e32 v46, s24, v46
	v_mul_f32_e32 v16, 0.5, v13
	v_add_co_u32 v10, vcc_lo, s12, v18
	s_wait_alu 0xfffd
	v_add_co_ci_u32_e64 v11, null, s13, v19, vcc_lo
	v_lshlrev_b64_e32 v[12:13], 2, v[46:47]
	v_add_nc_u32_e32 v46, s24, v46
	v_add_co_u32 v8, vcc_lo, s12, v8
	v_mul_f32_e32 v17, 0.5, v14
	s_wait_alu 0xfffd
	v_add_co_ci_u32_e64 v9, null, s13, v9, vcc_lo
	v_mul_f32_e32 v18, 0.5, v15
	v_add_co_u32 v12, vcc_lo, s12, v12
	v_lshlrev_b64_e32 v[14:15], 2, v[46:47]
	v_add_nc_u32_e32 v46, s24, v46
	s_wait_alu 0xfffd
	v_add_co_ci_u32_e64 v13, null, s13, v13, vcc_lo
	s_clause 0x2
	global_store_b32 v[10:11], v16, off
	global_store_b32 v[8:9], v17, off
	;; [unrolled: 1-line block ×3, first 2 shown]
	v_lshlrev_b64_e32 v[8:9], 2, v[46:47]
	v_add_nc_u32_e32 v46, s24, v46
	s_wait_loadcnt 0x1
	v_mul_f32_e32 v16, 0.5, v0
	v_add_co_u32 v10, vcc_lo, s12, v14
	v_mul_f32_e32 v14, 0.5, v1
	v_lshlrev_b64_e32 v[0:1], 2, v[46:47]
	v_add_nc_u32_e32 v46, s24, v46
	s_wait_alu 0xfffd
	v_add_co_ci_u32_e64 v11, null, s13, v15, vcc_lo
	v_add_co_u32 v8, vcc_lo, s12, v8
	s_wait_alu 0xfffd
	v_add_co_ci_u32_e64 v9, null, s13, v9, vcc_lo
	v_add_co_u32 v0, vcc_lo, s12, v0
	v_lshlrev_b64_e32 v[12:13], 2, v[46:47]
	v_add_nc_u32_e32 v46, s24, v46
	v_mul_f32_e32 v2, 0.5, v2
	s_wait_alu 0xfffd
	v_add_co_ci_u32_e64 v1, null, s13, v1, vcc_lo
	s_clause 0x2
	global_store_b32 v[10:11], v16, off
	global_store_b32 v[8:9], v14, off
	;; [unrolled: 1-line block ×3, first 2 shown]
	v_lshlrev_b64_e32 v[0:1], 2, v[46:47]
	v_add_nc_u32_e32 v46, s24, v46
	v_add_co_u32 v2, vcc_lo, s12, v12
	v_mul_f32_e32 v14, 0.5, v3
	s_wait_alu 0xfffd
	v_add_co_ci_u32_e64 v3, null, s13, v13, vcc_lo
	v_lshlrev_b64_e32 v[8:9], 2, v[46:47]
	v_add_nc_u32_e32 v46, s24, v46
	s_wait_loadcnt 0x0
	v_dual_mul_f32 v12, 0.5, v4 :: v_dual_mul_f32 v13, 0.5, v5
	v_add_co_u32 v0, vcc_lo, s12, v0
	s_delay_alu instid0(VALU_DEP_3) | instskip(SKIP_4) | instid1(VALU_DEP_3)
	v_lshlrev_b64_e32 v[4:5], 2, v[46:47]
	v_add_nc_u32_e32 v46, s24, v46
	s_wait_alu 0xfffd
	v_add_co_ci_u32_e64 v1, null, s13, v1, vcc_lo
	v_add_co_u32 v8, vcc_lo, s12, v8
	v_lshlrev_b64_e32 v[10:11], 2, v[46:47]
	s_wait_alu 0xfffd
	v_add_co_ci_u32_e64 v9, null, s13, v9, vcc_lo
	v_add_co_u32 v4, vcc_lo, s12, v4
	v_mul_f32_e32 v15, 0.5, v6
	s_wait_alu 0xfffd
	v_add_co_ci_u32_e64 v5, null, s13, v5, vcc_lo
	v_add_co_u32 v6, vcc_lo, s12, v10
	v_mul_f32_e32 v16, 0.5, v7
	s_wait_alu 0xfffd
	v_add_co_ci_u32_e64 v7, null, s13, v11, vcc_lo
	s_clause 0x4
	global_store_b32 v[2:3], v14, off
	global_store_b32 v[0:1], v12, off
	;; [unrolled: 1-line block ×5, first 2 shown]
.LBB7_36:
	s_nop 0
	s_sendmsg sendmsg(MSG_DEALLOC_VGPRS)
	s_endpgm
	.section	.rodata,"a",@progbits
	.p2align	6, 0x0
	.amdhsa_kernel _ZL11fasten_mainILm128EEviiPK4AtomS2_PKfS4_S4_S4_S4_S4_PfPK8FFParamsi
		.amdhsa_group_segment_fixed_size 0
		.amdhsa_private_segment_fixed_size 8208
		.amdhsa_kernarg_size 352
		.amdhsa_user_sgpr_count 2
		.amdhsa_user_sgpr_dispatch_ptr 0
		.amdhsa_user_sgpr_queue_ptr 0
		.amdhsa_user_sgpr_kernarg_segment_ptr 1
		.amdhsa_user_sgpr_dispatch_id 0
		.amdhsa_user_sgpr_private_segment_size 0
		.amdhsa_wavefront_size32 1
		.amdhsa_uses_dynamic_stack 0
		.amdhsa_enable_private_segment 1
		.amdhsa_system_sgpr_workgroup_id_x 1
		.amdhsa_system_sgpr_workgroup_id_y 0
		.amdhsa_system_sgpr_workgroup_id_z 0
		.amdhsa_system_sgpr_workgroup_info 0
		.amdhsa_system_vgpr_workitem_id 0
		.amdhsa_next_free_vgpr 124
		.amdhsa_next_free_sgpr 43
		.amdhsa_reserve_vcc 1
		.amdhsa_float_round_mode_32 0
		.amdhsa_float_round_mode_16_64 0
		.amdhsa_float_denorm_mode_32 3
		.amdhsa_float_denorm_mode_16_64 3
		.amdhsa_fp16_overflow 0
		.amdhsa_workgroup_processor_mode 1
		.amdhsa_memory_ordered 1
		.amdhsa_forward_progress 1
		.amdhsa_inst_pref_size 117
		.amdhsa_round_robin_scheduling 0
		.amdhsa_exception_fp_ieee_invalid_op 0
		.amdhsa_exception_fp_denorm_src 0
		.amdhsa_exception_fp_ieee_div_zero 0
		.amdhsa_exception_fp_ieee_overflow 0
		.amdhsa_exception_fp_ieee_underflow 0
		.amdhsa_exception_fp_ieee_inexact 0
		.amdhsa_exception_int_div_zero 0
	.end_amdhsa_kernel
	.section	.text._ZL11fasten_mainILm128EEviiPK4AtomS2_PKfS4_S4_S4_S4_S4_PfPK8FFParamsi,"axG",@progbits,_ZL11fasten_mainILm128EEviiPK4AtomS2_PKfS4_S4_S4_S4_S4_PfPK8FFParamsi,comdat
.Lfunc_end7:
	.size	_ZL11fasten_mainILm128EEviiPK4AtomS2_PKfS4_S4_S4_S4_S4_PfPK8FFParamsi, .Lfunc_end7-_ZL11fasten_mainILm128EEviiPK4AtomS2_PKfS4_S4_S4_S4_S4_PfPK8FFParamsi
                                        ; -- End function
	.set _ZL11fasten_mainILm128EEviiPK4AtomS2_PKfS4_S4_S4_S4_S4_PfPK8FFParamsi.num_vgpr, 124
	.set _ZL11fasten_mainILm128EEviiPK4AtomS2_PKfS4_S4_S4_S4_S4_PfPK8FFParamsi.num_agpr, 0
	.set _ZL11fasten_mainILm128EEviiPK4AtomS2_PKfS4_S4_S4_S4_S4_PfPK8FFParamsi.numbered_sgpr, 43
	.set _ZL11fasten_mainILm128EEviiPK4AtomS2_PKfS4_S4_S4_S4_S4_PfPK8FFParamsi.num_named_barrier, 0
	.set _ZL11fasten_mainILm128EEviiPK4AtomS2_PKfS4_S4_S4_S4_S4_PfPK8FFParamsi.private_seg_size, 8208
	.set _ZL11fasten_mainILm128EEviiPK4AtomS2_PKfS4_S4_S4_S4_S4_PfPK8FFParamsi.uses_vcc, 1
	.set _ZL11fasten_mainILm128EEviiPK4AtomS2_PKfS4_S4_S4_S4_S4_PfPK8FFParamsi.uses_flat_scratch, 1
	.set _ZL11fasten_mainILm128EEviiPK4AtomS2_PKfS4_S4_S4_S4_S4_PfPK8FFParamsi.has_dyn_sized_stack, 0
	.set _ZL11fasten_mainILm128EEviiPK4AtomS2_PKfS4_S4_S4_S4_S4_PfPK8FFParamsi.has_recursion, 0
	.set _ZL11fasten_mainILm128EEviiPK4AtomS2_PKfS4_S4_S4_S4_S4_PfPK8FFParamsi.has_indirect_call, 0
	.section	.AMDGPU.csdata,"",@progbits
; Kernel info:
; codeLenInByte = 14904
; TotalNumSgprs: 45
; NumVgprs: 124
; ScratchSize: 8208
; MemoryBound: 0
; FloatMode: 240
; IeeeMode: 1
; LDSByteSize: 0 bytes/workgroup (compile time only)
; SGPRBlocks: 0
; VGPRBlocks: 15
; NumSGPRsForWavesPerEU: 45
; NumVGPRsForWavesPerEU: 124
; Occupancy: 10
; WaveLimiterHint : 1
; COMPUTE_PGM_RSRC2:SCRATCH_EN: 1
; COMPUTE_PGM_RSRC2:USER_SGPR: 2
; COMPUTE_PGM_RSRC2:TRAP_HANDLER: 0
; COMPUTE_PGM_RSRC2:TGID_X_EN: 1
; COMPUTE_PGM_RSRC2:TGID_Y_EN: 0
; COMPUTE_PGM_RSRC2:TGID_Z_EN: 0
; COMPUTE_PGM_RSRC2:TIDIG_COMP_CNT: 0
	.section	.AMDGPU.gpr_maximums,"",@progbits
	.set amdgpu.max_num_vgpr, 0
	.set amdgpu.max_num_agpr, 0
	.set amdgpu.max_num_sgpr, 0
	.section	.AMDGPU.csdata,"",@progbits
	.type	__hip_cuid_841529d98f430c4c,@object ; @__hip_cuid_841529d98f430c4c
	.section	.bss,"aw",@nobits
	.globl	__hip_cuid_841529d98f430c4c
__hip_cuid_841529d98f430c4c:
	.byte	0                               ; 0x0
	.size	__hip_cuid_841529d98f430c4c, 1

	.ident	"AMD clang version 22.0.0git (https://github.com/RadeonOpenCompute/llvm-project roc-7.2.4 26084 f58b06dce1f9c15707c5f808fd002e18c2accf7e)"
	.section	".note.GNU-stack","",@progbits
	.addrsig
	.addrsig_sym __hip_cuid_841529d98f430c4c
	.amdgpu_metadata
---
amdhsa.kernels:
  - .args:
      - .offset:         0
        .size:           4
        .value_kind:     by_value
      - .offset:         4
        .size:           4
        .value_kind:     by_value
      - .address_space:  global
        .offset:         8
        .size:           8
        .value_kind:     global_buffer
      - .address_space:  global
        .offset:         16
        .size:           8
        .value_kind:     global_buffer
      - .address_space:  global
        .offset:         24
        .size:           8
        .value_kind:     global_buffer
      - .address_space:  global
        .offset:         32
        .size:           8
        .value_kind:     global_buffer
      - .address_space:  global
        .offset:         40
        .size:           8
        .value_kind:     global_buffer
      - .address_space:  global
        .offset:         48
        .size:           8
        .value_kind:     global_buffer
      - .address_space:  global
        .offset:         56
        .size:           8
        .value_kind:     global_buffer
      - .address_space:  global
        .offset:         64
        .size:           8
        .value_kind:     global_buffer
      - .address_space:  global
        .offset:         72
        .size:           8
        .value_kind:     global_buffer
      - .address_space:  global
        .offset:         80
        .size:           8
        .value_kind:     global_buffer
      - .offset:         88
        .size:           4
        .value_kind:     by_value
      - .offset:         96
        .size:           4
        .value_kind:     hidden_block_count_x
      - .offset:         100
        .size:           4
        .value_kind:     hidden_block_count_y
      - .offset:         104
        .size:           4
        .value_kind:     hidden_block_count_z
      - .offset:         108
        .size:           2
        .value_kind:     hidden_group_size_x
      - .offset:         110
        .size:           2
        .value_kind:     hidden_group_size_y
      - .offset:         112
        .size:           2
        .value_kind:     hidden_group_size_z
      - .offset:         114
        .size:           2
        .value_kind:     hidden_remainder_x
      - .offset:         116
        .size:           2
        .value_kind:     hidden_remainder_y
      - .offset:         118
        .size:           2
        .value_kind:     hidden_remainder_z
      - .offset:         136
        .size:           8
        .value_kind:     hidden_global_offset_x
      - .offset:         144
        .size:           8
        .value_kind:     hidden_global_offset_y
      - .offset:         152
        .size:           8
        .value_kind:     hidden_global_offset_z
      - .offset:         160
        .size:           2
        .value_kind:     hidden_grid_dims
    .group_segment_fixed_size: 0
    .kernarg_segment_align: 8
    .kernarg_segment_size: 352
    .language:       OpenCL C
    .language_version:
      - 2
      - 0
    .max_flat_workgroup_size: 1024
    .name:           _ZL11fasten_mainILm1EEviiPK4AtomS2_PKfS4_S4_S4_S4_S4_PfPK8FFParamsi
    .private_segment_fixed_size: 0
    .sgpr_count:     34
    .sgpr_spill_count: 0
    .symbol:         _ZL11fasten_mainILm1EEviiPK4AtomS2_PKfS4_S4_S4_S4_S4_PfPK8FFParamsi.kd
    .uniform_work_group_size: 1
    .uses_dynamic_stack: false
    .vgpr_count:     45
    .vgpr_spill_count: 0
    .wavefront_size: 32
    .workgroup_processor_mode: 1
  - .args:
      - .offset:         0
        .size:           4
        .value_kind:     by_value
      - .offset:         4
        .size:           4
        .value_kind:     by_value
      - .address_space:  global
        .offset:         8
        .size:           8
        .value_kind:     global_buffer
      - .address_space:  global
        .offset:         16
        .size:           8
        .value_kind:     global_buffer
      - .address_space:  global
        .offset:         24
        .size:           8
        .value_kind:     global_buffer
      - .address_space:  global
        .offset:         32
        .size:           8
        .value_kind:     global_buffer
      - .address_space:  global
        .offset:         40
        .size:           8
        .value_kind:     global_buffer
      - .address_space:  global
        .offset:         48
        .size:           8
        .value_kind:     global_buffer
      - .address_space:  global
        .offset:         56
        .size:           8
        .value_kind:     global_buffer
      - .address_space:  global
        .offset:         64
        .size:           8
        .value_kind:     global_buffer
      - .address_space:  global
        .offset:         72
        .size:           8
        .value_kind:     global_buffer
      - .address_space:  global
        .offset:         80
        .size:           8
        .value_kind:     global_buffer
      - .offset:         88
        .size:           4
        .value_kind:     by_value
      - .offset:         96
        .size:           4
        .value_kind:     hidden_block_count_x
      - .offset:         100
        .size:           4
        .value_kind:     hidden_block_count_y
      - .offset:         104
        .size:           4
        .value_kind:     hidden_block_count_z
      - .offset:         108
        .size:           2
        .value_kind:     hidden_group_size_x
      - .offset:         110
        .size:           2
        .value_kind:     hidden_group_size_y
      - .offset:         112
        .size:           2
        .value_kind:     hidden_group_size_z
      - .offset:         114
        .size:           2
        .value_kind:     hidden_remainder_x
      - .offset:         116
        .size:           2
        .value_kind:     hidden_remainder_y
      - .offset:         118
        .size:           2
        .value_kind:     hidden_remainder_z
      - .offset:         136
        .size:           8
        .value_kind:     hidden_global_offset_x
      - .offset:         144
        .size:           8
        .value_kind:     hidden_global_offset_y
      - .offset:         152
        .size:           8
        .value_kind:     hidden_global_offset_z
      - .offset:         160
        .size:           2
        .value_kind:     hidden_grid_dims
    .group_segment_fixed_size: 0
    .kernarg_segment_align: 8
    .kernarg_segment_size: 352
    .language:       OpenCL C
    .language_version:
      - 2
      - 0
    .max_flat_workgroup_size: 1024
    .name:           _ZL11fasten_mainILm2EEviiPK4AtomS2_PKfS4_S4_S4_S4_S4_PfPK8FFParamsi
    .private_segment_fixed_size: 112
    .sgpr_count:     38
    .sgpr_spill_count: 0
    .symbol:         _ZL11fasten_mainILm2EEviiPK4AtomS2_PKfS4_S4_S4_S4_S4_PfPK8FFParamsi.kd
    .uniform_work_group_size: 1
    .uses_dynamic_stack: false
    .vgpr_count:     52
    .vgpr_spill_count: 0
    .wavefront_size: 32
    .workgroup_processor_mode: 1
  - .args:
      - .offset:         0
        .size:           4
        .value_kind:     by_value
      - .offset:         4
        .size:           4
        .value_kind:     by_value
      - .address_space:  global
        .offset:         8
        .size:           8
        .value_kind:     global_buffer
      - .address_space:  global
        .offset:         16
        .size:           8
        .value_kind:     global_buffer
      - .address_space:  global
        .offset:         24
        .size:           8
        .value_kind:     global_buffer
      - .address_space:  global
        .offset:         32
        .size:           8
        .value_kind:     global_buffer
      - .address_space:  global
        .offset:         40
        .size:           8
        .value_kind:     global_buffer
      - .address_space:  global
        .offset:         48
        .size:           8
        .value_kind:     global_buffer
      - .address_space:  global
        .offset:         56
        .size:           8
        .value_kind:     global_buffer
      - .address_space:  global
        .offset:         64
        .size:           8
        .value_kind:     global_buffer
      - .address_space:  global
        .offset:         72
        .size:           8
        .value_kind:     global_buffer
      - .address_space:  global
        .offset:         80
        .size:           8
        .value_kind:     global_buffer
      - .offset:         88
        .size:           4
        .value_kind:     by_value
      - .offset:         96
        .size:           4
        .value_kind:     hidden_block_count_x
      - .offset:         100
        .size:           4
        .value_kind:     hidden_block_count_y
      - .offset:         104
        .size:           4
        .value_kind:     hidden_block_count_z
      - .offset:         108
        .size:           2
        .value_kind:     hidden_group_size_x
      - .offset:         110
        .size:           2
        .value_kind:     hidden_group_size_y
      - .offset:         112
        .size:           2
        .value_kind:     hidden_group_size_z
      - .offset:         114
        .size:           2
        .value_kind:     hidden_remainder_x
      - .offset:         116
        .size:           2
        .value_kind:     hidden_remainder_y
      - .offset:         118
        .size:           2
        .value_kind:     hidden_remainder_z
      - .offset:         136
        .size:           8
        .value_kind:     hidden_global_offset_x
      - .offset:         144
        .size:           8
        .value_kind:     hidden_global_offset_y
      - .offset:         152
        .size:           8
        .value_kind:     hidden_global_offset_z
      - .offset:         160
        .size:           2
        .value_kind:     hidden_grid_dims
    .group_segment_fixed_size: 0
    .kernarg_segment_align: 8
    .kernarg_segment_size: 352
    .language:       OpenCL C
    .language_version:
      - 2
      - 0
    .max_flat_workgroup_size: 1024
    .name:           _ZL11fasten_mainILm4EEviiPK4AtomS2_PKfS4_S4_S4_S4_S4_PfPK8FFParamsi
    .private_segment_fixed_size: 208
    .sgpr_count:     42
    .sgpr_spill_count: 0
    .symbol:         _ZL11fasten_mainILm4EEviiPK4AtomS2_PKfS4_S4_S4_S4_S4_PfPK8FFParamsi.kd
    .uniform_work_group_size: 1
    .uses_dynamic_stack: false
    .vgpr_count:     96
    .vgpr_spill_count: 0
    .wavefront_size: 32
    .workgroup_processor_mode: 1
  - .args:
      - .offset:         0
        .size:           4
        .value_kind:     by_value
      - .offset:         4
        .size:           4
        .value_kind:     by_value
      - .address_space:  global
        .offset:         8
        .size:           8
        .value_kind:     global_buffer
      - .address_space:  global
        .offset:         16
        .size:           8
        .value_kind:     global_buffer
      - .address_space:  global
        .offset:         24
        .size:           8
        .value_kind:     global_buffer
      - .address_space:  global
        .offset:         32
        .size:           8
        .value_kind:     global_buffer
      - .address_space:  global
        .offset:         40
        .size:           8
        .value_kind:     global_buffer
      - .address_space:  global
        .offset:         48
        .size:           8
        .value_kind:     global_buffer
      - .address_space:  global
        .offset:         56
        .size:           8
        .value_kind:     global_buffer
      - .address_space:  global
        .offset:         64
        .size:           8
        .value_kind:     global_buffer
      - .address_space:  global
        .offset:         72
        .size:           8
        .value_kind:     global_buffer
      - .address_space:  global
        .offset:         80
        .size:           8
        .value_kind:     global_buffer
      - .offset:         88
        .size:           4
        .value_kind:     by_value
      - .offset:         96
        .size:           4
        .value_kind:     hidden_block_count_x
      - .offset:         100
        .size:           4
        .value_kind:     hidden_block_count_y
      - .offset:         104
        .size:           4
        .value_kind:     hidden_block_count_z
      - .offset:         108
        .size:           2
        .value_kind:     hidden_group_size_x
      - .offset:         110
        .size:           2
        .value_kind:     hidden_group_size_y
      - .offset:         112
        .size:           2
        .value_kind:     hidden_group_size_z
      - .offset:         114
        .size:           2
        .value_kind:     hidden_remainder_x
      - .offset:         116
        .size:           2
        .value_kind:     hidden_remainder_y
      - .offset:         118
        .size:           2
        .value_kind:     hidden_remainder_z
      - .offset:         136
        .size:           8
        .value_kind:     hidden_global_offset_x
      - .offset:         144
        .size:           8
        .value_kind:     hidden_global_offset_y
      - .offset:         152
        .size:           8
        .value_kind:     hidden_global_offset_z
      - .offset:         160
        .size:           2
        .value_kind:     hidden_grid_dims
    .group_segment_fixed_size: 0
    .kernarg_segment_align: 8
    .kernarg_segment_size: 352
    .language:       OpenCL C
    .language_version:
      - 2
      - 0
    .max_flat_workgroup_size: 1024
    .name:           _ZL11fasten_mainILm8EEviiPK4AtomS2_PKfS4_S4_S4_S4_S4_PfPK8FFParamsi
    .private_segment_fixed_size: 432
    .sgpr_count:     59
    .sgpr_spill_count: 0
    .symbol:         _ZL11fasten_mainILm8EEviiPK4AtomS2_PKfS4_S4_S4_S4_S4_PfPK8FFParamsi.kd
    .uniform_work_group_size: 1
    .uses_dynamic_stack: false
    .vgpr_count:     184
    .vgpr_spill_count: 0
    .wavefront_size: 32
    .workgroup_processor_mode: 1
  - .args:
      - .offset:         0
        .size:           4
        .value_kind:     by_value
      - .offset:         4
        .size:           4
        .value_kind:     by_value
      - .address_space:  global
        .offset:         8
        .size:           8
        .value_kind:     global_buffer
      - .address_space:  global
        .offset:         16
        .size:           8
        .value_kind:     global_buffer
      - .address_space:  global
        .offset:         24
        .size:           8
        .value_kind:     global_buffer
      - .address_space:  global
        .offset:         32
        .size:           8
        .value_kind:     global_buffer
      - .address_space:  global
        .offset:         40
        .size:           8
        .value_kind:     global_buffer
      - .address_space:  global
        .offset:         48
        .size:           8
        .value_kind:     global_buffer
      - .address_space:  global
        .offset:         56
        .size:           8
        .value_kind:     global_buffer
      - .address_space:  global
        .offset:         64
        .size:           8
        .value_kind:     global_buffer
      - .address_space:  global
        .offset:         72
        .size:           8
        .value_kind:     global_buffer
      - .address_space:  global
        .offset:         80
        .size:           8
        .value_kind:     global_buffer
      - .offset:         88
        .size:           4
        .value_kind:     by_value
      - .offset:         96
        .size:           4
        .value_kind:     hidden_block_count_x
      - .offset:         100
        .size:           4
        .value_kind:     hidden_block_count_y
      - .offset:         104
        .size:           4
        .value_kind:     hidden_block_count_z
      - .offset:         108
        .size:           2
        .value_kind:     hidden_group_size_x
      - .offset:         110
        .size:           2
        .value_kind:     hidden_group_size_y
      - .offset:         112
        .size:           2
        .value_kind:     hidden_group_size_z
      - .offset:         114
        .size:           2
        .value_kind:     hidden_remainder_x
      - .offset:         116
        .size:           2
        .value_kind:     hidden_remainder_y
      - .offset:         118
        .size:           2
        .value_kind:     hidden_remainder_z
      - .offset:         136
        .size:           8
        .value_kind:     hidden_global_offset_x
      - .offset:         144
        .size:           8
        .value_kind:     hidden_global_offset_y
      - .offset:         152
        .size:           8
        .value_kind:     hidden_global_offset_z
      - .offset:         160
        .size:           2
        .value_kind:     hidden_grid_dims
    .group_segment_fixed_size: 0
    .kernarg_segment_align: 8
    .kernarg_segment_size: 352
    .language:       OpenCL C
    .language_version:
      - 2
      - 0
    .max_flat_workgroup_size: 1024
    .name:           _ZL11fasten_mainILm16EEviiPK4AtomS2_PKfS4_S4_S4_S4_S4_PfPK8FFParamsi
    .private_segment_fixed_size: 1168
    .sgpr_count:     37
    .sgpr_spill_count: 0
    .symbol:         _ZL11fasten_mainILm16EEviiPK4AtomS2_PKfS4_S4_S4_S4_S4_PfPK8FFParamsi.kd
    .uniform_work_group_size: 1
    .uses_dynamic_stack: false
    .vgpr_count:     192
    .vgpr_spill_count: 80
    .wavefront_size: 32
    .workgroup_processor_mode: 1
  - .args:
      - .offset:         0
        .size:           4
        .value_kind:     by_value
      - .offset:         4
        .size:           4
        .value_kind:     by_value
      - .address_space:  global
        .offset:         8
        .size:           8
        .value_kind:     global_buffer
      - .address_space:  global
        .offset:         16
        .size:           8
        .value_kind:     global_buffer
      - .address_space:  global
        .offset:         24
        .size:           8
        .value_kind:     global_buffer
      - .address_space:  global
        .offset:         32
        .size:           8
        .value_kind:     global_buffer
      - .address_space:  global
        .offset:         40
        .size:           8
        .value_kind:     global_buffer
      - .address_space:  global
        .offset:         48
        .size:           8
        .value_kind:     global_buffer
      - .address_space:  global
        .offset:         56
        .size:           8
        .value_kind:     global_buffer
      - .address_space:  global
        .offset:         64
        .size:           8
        .value_kind:     global_buffer
      - .address_space:  global
        .offset:         72
        .size:           8
        .value_kind:     global_buffer
      - .address_space:  global
        .offset:         80
        .size:           8
        .value_kind:     global_buffer
      - .offset:         88
        .size:           4
        .value_kind:     by_value
      - .offset:         96
        .size:           4
        .value_kind:     hidden_block_count_x
      - .offset:         100
        .size:           4
        .value_kind:     hidden_block_count_y
      - .offset:         104
        .size:           4
        .value_kind:     hidden_block_count_z
      - .offset:         108
        .size:           2
        .value_kind:     hidden_group_size_x
      - .offset:         110
        .size:           2
        .value_kind:     hidden_group_size_y
      - .offset:         112
        .size:           2
        .value_kind:     hidden_group_size_z
      - .offset:         114
        .size:           2
        .value_kind:     hidden_remainder_x
      - .offset:         116
        .size:           2
        .value_kind:     hidden_remainder_y
      - .offset:         118
        .size:           2
        .value_kind:     hidden_remainder_z
      - .offset:         136
        .size:           8
        .value_kind:     hidden_global_offset_x
      - .offset:         144
        .size:           8
        .value_kind:     hidden_global_offset_y
      - .offset:         152
        .size:           8
        .value_kind:     hidden_global_offset_z
      - .offset:         160
        .size:           2
        .value_kind:     hidden_grid_dims
    .group_segment_fixed_size: 0
    .kernarg_segment_align: 8
    .kernarg_segment_size: 352
    .language:       OpenCL C
    .language_version:
      - 2
      - 0
    .max_flat_workgroup_size: 1024
    .name:           _ZL11fasten_mainILm32EEviiPK4AtomS2_PKfS4_S4_S4_S4_S4_PfPK8FFParamsi
    .private_segment_fixed_size: 2928
    .sgpr_count:     37
    .sgpr_spill_count: 0
    .symbol:         _ZL11fasten_mainILm32EEviiPK4AtomS2_PKfS4_S4_S4_S4_S4_PfPK8FFParamsi.kd
    .uniform_work_group_size: 1
    .uses_dynamic_stack: false
    .vgpr_count:     192
    .vgpr_spill_count: 315
    .wavefront_size: 32
    .workgroup_processor_mode: 1
  - .args:
      - .offset:         0
        .size:           4
        .value_kind:     by_value
      - .offset:         4
        .size:           4
        .value_kind:     by_value
      - .address_space:  global
        .offset:         8
        .size:           8
        .value_kind:     global_buffer
      - .address_space:  global
        .offset:         16
        .size:           8
        .value_kind:     global_buffer
      - .address_space:  global
        .offset:         24
        .size:           8
        .value_kind:     global_buffer
      - .address_space:  global
        .offset:         32
        .size:           8
        .value_kind:     global_buffer
      - .address_space:  global
        .offset:         40
        .size:           8
        .value_kind:     global_buffer
      - .address_space:  global
        .offset:         48
        .size:           8
        .value_kind:     global_buffer
      - .address_space:  global
        .offset:         56
        .size:           8
        .value_kind:     global_buffer
      - .address_space:  global
        .offset:         64
        .size:           8
        .value_kind:     global_buffer
      - .address_space:  global
        .offset:         72
        .size:           8
        .value_kind:     global_buffer
      - .address_space:  global
        .offset:         80
        .size:           8
        .value_kind:     global_buffer
      - .offset:         88
        .size:           4
        .value_kind:     by_value
      - .offset:         96
        .size:           4
        .value_kind:     hidden_block_count_x
      - .offset:         100
        .size:           4
        .value_kind:     hidden_block_count_y
      - .offset:         104
        .size:           4
        .value_kind:     hidden_block_count_z
      - .offset:         108
        .size:           2
        .value_kind:     hidden_group_size_x
      - .offset:         110
        .size:           2
        .value_kind:     hidden_group_size_y
      - .offset:         112
        .size:           2
        .value_kind:     hidden_group_size_z
      - .offset:         114
        .size:           2
        .value_kind:     hidden_remainder_x
      - .offset:         116
        .size:           2
        .value_kind:     hidden_remainder_y
      - .offset:         118
        .size:           2
        .value_kind:     hidden_remainder_z
      - .offset:         136
        .size:           8
        .value_kind:     hidden_global_offset_x
      - .offset:         144
        .size:           8
        .value_kind:     hidden_global_offset_y
      - .offset:         152
        .size:           8
        .value_kind:     hidden_global_offset_z
      - .offset:         160
        .size:           2
        .value_kind:     hidden_grid_dims
    .group_segment_fixed_size: 0
    .kernarg_segment_align: 8
    .kernarg_segment_size: 352
    .language:       OpenCL C
    .language_version:
      - 2
      - 0
    .max_flat_workgroup_size: 1024
    .name:           _ZL11fasten_mainILm64EEviiPK4AtomS2_PKfS4_S4_S4_S4_S4_PfPK8FFParamsi
    .private_segment_fixed_size: 4848
    .sgpr_count:     37
    .sgpr_spill_count: 0
    .symbol:         _ZL11fasten_mainILm64EEviiPK4AtomS2_PKfS4_S4_S4_S4_S4_PfPK8FFParamsi.kd
    .uniform_work_group_size: 1
    .uses_dynamic_stack: false
    .vgpr_count:     192
    .vgpr_spill_count: 379
    .wavefront_size: 32
    .workgroup_processor_mode: 1
  - .args:
      - .offset:         0
        .size:           4
        .value_kind:     by_value
      - .offset:         4
        .size:           4
        .value_kind:     by_value
      - .address_space:  global
        .offset:         8
        .size:           8
        .value_kind:     global_buffer
      - .address_space:  global
        .offset:         16
        .size:           8
        .value_kind:     global_buffer
      - .address_space:  global
        .offset:         24
        .size:           8
        .value_kind:     global_buffer
      - .address_space:  global
        .offset:         32
        .size:           8
        .value_kind:     global_buffer
      - .address_space:  global
        .offset:         40
        .size:           8
        .value_kind:     global_buffer
      - .address_space:  global
        .offset:         48
        .size:           8
        .value_kind:     global_buffer
      - .address_space:  global
        .offset:         56
        .size:           8
        .value_kind:     global_buffer
      - .address_space:  global
        .offset:         64
        .size:           8
        .value_kind:     global_buffer
      - .address_space:  global
        .offset:         72
        .size:           8
        .value_kind:     global_buffer
      - .address_space:  global
        .offset:         80
        .size:           8
        .value_kind:     global_buffer
      - .offset:         88
        .size:           4
        .value_kind:     by_value
      - .offset:         96
        .size:           4
        .value_kind:     hidden_block_count_x
      - .offset:         100
        .size:           4
        .value_kind:     hidden_block_count_y
      - .offset:         104
        .size:           4
        .value_kind:     hidden_block_count_z
      - .offset:         108
        .size:           2
        .value_kind:     hidden_group_size_x
      - .offset:         110
        .size:           2
        .value_kind:     hidden_group_size_y
      - .offset:         112
        .size:           2
        .value_kind:     hidden_group_size_z
      - .offset:         114
        .size:           2
        .value_kind:     hidden_remainder_x
      - .offset:         116
        .size:           2
        .value_kind:     hidden_remainder_y
      - .offset:         118
        .size:           2
        .value_kind:     hidden_remainder_z
      - .offset:         136
        .size:           8
        .value_kind:     hidden_global_offset_x
      - .offset:         144
        .size:           8
        .value_kind:     hidden_global_offset_y
      - .offset:         152
        .size:           8
        .value_kind:     hidden_global_offset_z
      - .offset:         160
        .size:           2
        .value_kind:     hidden_grid_dims
    .group_segment_fixed_size: 0
    .kernarg_segment_align: 8
    .kernarg_segment_size: 352
    .language:       OpenCL C
    .language_version:
      - 2
      - 0
    .max_flat_workgroup_size: 1024
    .name:           _ZL11fasten_mainILm128EEviiPK4AtomS2_PKfS4_S4_S4_S4_S4_PfPK8FFParamsi
    .private_segment_fixed_size: 8208
    .sgpr_count:     45
    .sgpr_spill_count: 0
    .symbol:         _ZL11fasten_mainILm128EEviiPK4AtomS2_PKfS4_S4_S4_S4_S4_PfPK8FFParamsi.kd
    .uniform_work_group_size: 1
    .uses_dynamic_stack: false
    .vgpr_count:     124
    .vgpr_spill_count: 0
    .wavefront_size: 32
    .workgroup_processor_mode: 1
amdhsa.target:   amdgcn-amd-amdhsa--gfx1201
amdhsa.version:
  - 1
  - 2
...

	.end_amdgpu_metadata
